;; amdgpu-corpus repo=ROCm/aiter kind=harvested arch=n/a opt=n/a

/root/src/amdgpu-assembly/repos/ROCm__aiter/hsa/gfx950/fmoe/silu/fmoe_bf16_blockscaleBf16_g1u1_flat_vs_silu_1x256.co:	file format elf64-amdgpu

Disassembly of section .text:

0000000000002e00 <_ZN5aiter48fmoe_bf16_blockscaleBf16_g1u1_flat_vs_silu_1x256E>:
	s_and_b32 s1, s1, 0xffff                                   // 000000002E00: 8601FF01 0000FFFF
	s_load_dwordx2 s[8:9], s[0:1], 0x0                         // 000000002E08: C0060200 00000000
	s_load_dwordx2 s[20:21], s[0:1], 0x10                      // 000000002E10: C0060500 00000010
	s_load_dwordx2 s[24:25], s[0:1], 0x20                      // 000000002E18: C0060600 00000020
	s_load_dwordx2 s[50:51], s[0:1], 0x30                      // 000000002E20: C0060C80 00000030
	s_load_dwordx2 s[12:13], s[0:1], 0x40                      // 000000002E28: C0060300 00000040
	s_load_dwordx2 s[28:29], s[0:1], 0x50                      // 000000002E30: C0060700 00000050
	s_load_dwordx2 s[32:33], s[0:1], 0x60                      // 000000002E38: C0060800 00000060
	s_load_dwordx2 s[16:17], s[0:1], 0x70                      // 000000002E40: C0060400 00000070
	s_load_dwordx2 s[36:37], s[0:1], 0x80                      // 000000002E48: C0060900 00000080
	s_load_dwordx2 s[44:45], s[0:1], 0x90                      // 000000002E50: C0060B00 00000090
	s_load_dwordx2 s[40:41], s[0:1], 0xa0                      // 000000002E58: C0060A00 000000A0
	s_load_dwordx2 s[46:47], s[0:1], 0xb0                      // 000000002E60: C0060B80 000000B0
	s_load_dword s64, s[0:1], 0xc0                             // 000000002E68: C0021000 000000C0
	s_load_dword s65, s[0:1], 0xd0                             // 000000002E70: C0021040 000000D0
	s_load_dword s66, s[0:1], 0xe0                             // 000000002E78: C0021080 000000E0
	s_load_dword s67, s[0:1], 0xf0                             // 000000002E80: C00210C0 000000F0
	s_load_dword s68, s[0:1], 0x100                            // 000000002E88: C0021100 00000100
	s_load_dword s69, s[0:1], 0x110                            // 000000002E90: C0021140 00000110
	s_load_dword s70, s[0:1], 0x120                            // 000000002E98: C0021180 00000120
	s_load_dword s71, s[0:1], 0x130                            // 000000002EA0: C00211C0 00000130
	s_load_dword s72, s[0:1], 0x140                            // 000000002EA8: C0021200 00000140
	s_load_dword s73, s[0:1], 0x150                            // 000000002EB0: C0021240 00000150
	s_load_dword s74, s[0:1], 0x160                            // 000000002EB8: C0021280 00000160
	s_load_dword s75, s[0:1], 0x170                            // 000000002EC0: C00212C0 00000170
	s_load_dword s76, s[0:1], 0x180                            // 000000002EC8: C0021300 00000180
	s_load_dword s89, s[0:1], 0x190                            // 000000002ED0: C0021640 00000190
	v_lshrrev_b32_e32 v1, 10, v0                               // 000000002ED8: 2002008A
	v_lshrrev_b32_e32 v2, 10, v1                               // 000000002EDC: 2004028A
	v_and_b32_e32 v2, 0x3ff, v2                                // 000000002EE0: 260404FF 000003FF
	v_and_b32_e32 v1, 0x3ff, v1                                // 000000002EE8: 260202FF 000003FF
	v_and_b32_e32 v0, 0x3ff, v0                                // 000000002EF0: 260000FF 000003FF
	v_lshrrev_b32_e32 v3, 6, v0                                // 000000002EF8: 20060086
	v_and_b32_e32 v0, 63, v0                                   // 000000002EFC: 260000BF
	s_mov_b32 s96, s2                                          // 000000002F00: BEE00002
	s_mov_b32 s97, s3                                          // 000000002F04: BEE10003
	s_mov_b32 s2, s4                                           // 000000002F08: BE820004
	s_mov_b32 s3, s5                                           // 000000002F0C: BE830005
	s_mov_b32 s4, s6                                           // 000000002F10: BE840006
	s_mov_b32 s2, s2                                           // 000000002F14: BE820002
	s_mov_b32 s3, s3                                           // 000000002F18: BE830003
	s_mov_b32 s4, s4                                           // 000000002F1C: BE840004
	v_readfirstlane_b32 s7, v3                                 // 000000002F20: 7E0E0503
	s_waitcnt lgkmcnt(0)                                       // 000000002F24: BF8CC07F
	s_mul_i32 s86, s4, s89                                     // 000000002F28: 92565904
	s_add_u32 s86, s86, s3                                     // 000000002F2C: 80560356
	s_lshl_b32 s86, s86, 2                                     // 000000002F30: 8E568256
	s_load_dword s5, s[44:45], s86                             // 000000002F34: C0000156 00000056
	s_load_dword s88, s[40:41], s86                            // 000000002F3C: C0001614 00000056
	s_and_b32 s45, s45, 0xffff                                 // 000000002F44: 862DFF2D 0000FFFF
	s_and_b32 s47, s47, 0xffff                                 // 000000002F4C: 862FFF2F 0000FFFF
	s_and_b32 s9, s9, 0xffff                                   // 000000002F54: 8609FF09 0000FFFF
	s_mul_i32 s60, s66, s68                                    // 000000002F5C: 923C4442
	s_mul_i32 s61, s66, 4                                      // 000000002F60: 923D8442
	s_mov_b32 s22, s60                                         // 000000002F64: BE96003C
	s_mov_b32 s26, -16                                         // 000000002F68: BE9A00D0
	s_mov_b32 s14, -16                                         // 000000002F6C: BE8E00D0
	s_mov_b32 s42, -16                                         // 000000002F70: BEAA00D0
	s_mov_b32 s30, -16                                         // 000000002F74: BE9E00D0
	s_mov_b32 s34, -16                                         // 000000002F78: BEA200D0
	s_mov_b32 s38, -16                                         // 000000002F7C: BEA600D0
	s_mov_b32 s18, -16                                         // 000000002F80: BE9200D0
	s_mul_i32 s60, s66, s71                                    // 000000002F84: 923C4742
	s_mov_b32 s10, s60                                         // 000000002F88: BE8A003C
	s_mov_b32 s23, 0x20000                                     // 000000002F8C: BE9700FF 00020000
	s_mov_b32 s27, 0x20000                                     // 000000002F94: BE9B00FF 00020000
	s_mov_b32 s15, 0x20000                                     // 000000002F9C: BE8F00FF 00020000
	s_mov_b32 s43, 0x20000                                     // 000000002FA4: BEAB00FF 00020000
	s_mov_b32 s31, 0x20000                                     // 000000002FAC: BE9F00FF 00020000
	s_mov_b32 s35, 0x20000                                     // 000000002FB4: BEA300FF 00020000
	s_mov_b32 s39, 0x20000                                     // 000000002FBC: BEA700FF 00020000
	s_mov_b32 s19, 0x20000                                     // 000000002FC4: BE9300FF 00020000
	s_mov_b32 s11, 0x20000                                     // 000000002FCC: BE8B00FF 00020000
	s_and_b32 s21, s21, 0xffff                                 // 000000002FD4: 8615FF15 0000FFFF
	s_and_b32 s25, s25, 0xffff                                 // 000000002FDC: 8619FF19 0000FFFF
	s_and_b32 s13, s13, 0xffff                                 // 000000002FE4: 860DFF0D 0000FFFF
	s_and_b32 s41, s41, 0xffff                                 // 000000002FEC: 8629FF29 0000FFFF
	s_and_b32 s29, s29, 0xffff                                 // 000000002FF4: 861DFF1D 0000FFFF
	s_and_b32 s33, s33, 0xffff                                 // 000000002FFC: 8621FF21 0000FFFF
	s_and_b32 s37, s37, 0xffff                                 // 000000003004: 8625FF25 0000FFFF
	s_and_b32 s17, s17, 0xffff                                 // 00000000300C: 8611FF11 0000FFFF
	s_or_b32 s21, s21, 0x40000                                 // 000000003014: 8715FF15 00040000
	s_or_b32 s25, s25, 0x40000                                 // 00000000301C: 8719FF19 00040000
	s_or_b32 s13, s13, 0x40000                                 // 000000003024: 870DFF0D 00040000
	s_or_b32 s41, s41, 0x40000                                 // 00000000302C: 8729FF29 00040000
	s_or_b32 s29, s29, 0x40000                                 // 000000003034: 871DFF1D 00040000
	s_or_b32 s33, s33, 0x40000                                 // 00000000303C: 8721FF21 00040000
	s_or_b32 s37, s37, 0x40000                                 // 000000003044: 8725FF25 00040000
	s_or_b32 s17, s17, 0x40000                                 // 00000000304C: 8711FF11 00040000
	s_mov_b32 s46, -16                                         // 000000003054: BEAE00D0
	s_mov_b32 s47, 0x20000                                     // 000000003058: BEAF00FF 00020000
	s_or_b32 s45, s45, 0x40000                                 // 000000003060: 872DFF2D 00040000
	v_accvgpr_write_b32 a255, 0                                // 000000003068: D3D940FF 18000080
	v_mov_b32_e32 v191, 0                                      // 000000003070: 7F7E0280
	s_mul_i32 s99, s66, s64                                    // 000000003074: 92634042
	s_lshl_b32 s99, s99, 1                                     // 000000003078: 8E638163
	s_cmp_eq_u32 s7, 0                                         // 00000000307C: BF068007
	s_cbranch_scc0 label_00CD                                  // 000000003080: BF84002C
	s_mov_b64 exec, 1                                          // 000000003084: BEFE0181
	v_mov_b32_e32 v192, s99                                    // 000000003088: 7F800263
	global_load_dwordx2 v[200:201], v192, s[8:9] sc0 sc1       // 00000000308C: DE558000 C80800C0
	s_waitcnt vmcnt(0)                                         // 000000003094: BF8C0F70
	v_readfirstlane_b32 s60, v200                              // 000000003098: 7E7805C8
	v_readfirstlane_b32 s61, v201                              // 00000000309C: 7E7A05C9
	s_cmp_eq_u32 s60, s96                                      // 0000000030A0: BF06603C
	s_cbranch_scc0 label_00B2                                  // 0000000030A4: BF840008
	s_mov_b32 s98, 2                                           // 0000000030A8: BEE20082
	s_cmp_eq_u32 s61, 0xdeadc0de                               // 0000000030AC: BF06FF3D DEADC0DE
	s_cbranch_scc1 label_00C6                                  // 0000000030B4: BF850018
	s_mov_b32 s98, 1                                           // 0000000030B8: BEE20081
	s_cmp_eq_u32 s61, 0xdeaddead                               // 0000000030BC: BF06FF3D DEADDEAD
	s_cbranch_scc1 label_00C6                                  // 0000000030C4: BF850014

00000000000030c8 <label_00B2>:
	v_mov_b32_e32 v196, s96                                    // 0000000030C8: 7F880260
	s_mov_b32 s62, 0xdeaddead                                  // 0000000030CC: BEBE00FF DEADDEAD
	v_mov_b32_e32 v197, s62                                    // 0000000030D4: 7F8A023E
	v_mov_b32_e32 v198, v200                                   // 0000000030D8: 7F8C03C8
	v_mov_b32_e32 v199, v201                                   // 0000000030DC: 7F8E03C9
	global_atomic_cmpswap_x2 v[200:201], v192, v[196:199], s[8:9] sc0 sc1// 0000000030E0: DF858000 C808C4C0
	s_waitcnt vmcnt(0)                                         // 0000000030E8: BF8C0F70
	v_readfirstlane_b32 s60, v200                              // 0000000030EC: 7E7805C8
	v_readfirstlane_b32 s61, v198                              // 0000000030F0: 7E7A05C6
	s_cmp_eq_u32 s60, s61                                      // 0000000030F4: BF063D3C
	s_cbranch_scc0 label_00C5                                  // 0000000030F8: BF840006
	v_readfirstlane_b32 s60, v201                              // 0000000030FC: 7E7805C9
	v_readfirstlane_b32 s61, v199                              // 000000003100: 7E7A05C7
	s_cmp_eq_u32 s60, s61                                      // 000000003104: BF063D3C
	s_cbranch_scc0 label_00C5                                  // 000000003108: BF840002
	s_mov_b32 s98, 0                                           // 00000000310C: BEE20080
	s_branch label_00C6                                        // 000000003110: BF820001

0000000000003114 <label_00C5>:
	s_mov_b32 s98, 1                                           // 000000003114: BEE20081

0000000000003118 <label_00C6>:
	v_mov_b32_e32 v192, 0xb690                                 // 000000003118: 7F8002FF 0000B690
	v_mov_b32_e32 v196, s98                                    // 000000003120: 7F880262
	ds_write_b32 v192, v196                                    // 000000003124: D81A0000 0000C4C0
	s_waitcnt lgkmcnt(0)                                       // 00000000312C: BF8CC07F
	s_mov_b64 exec, -1                                         // 000000003130: BEFE01C1

0000000000003134 <label_00CD>:
	s_barrier                                                  // 000000003134: BF8A0000
	v_mov_b32_e32 v192, 0xb690                                 // 000000003138: 7F8002FF 0000B690
	ds_read_b32 v200, v192                                     // 000000003140: D86C0000 C80000C0
	s_waitcnt lgkmcnt(0)                                       // 000000003148: BF8CC07F
	v_readfirstlane_b32 s98, v200                              // 00000000314C: 7EC405C8
	s_cmp_eq_u32 s98, 0                                        // 000000003150: BF068062
	s_cbranch_scc0 label_00ED                                  // 000000003154: BF840017
	s_mov_b32 s56, s8                                          // 000000003158: BEB80008
	s_mov_b32 s57, s9                                          // 00000000315C: BEB90009
	s_mov_b32 s58, s99                                         // 000000003160: BEBA0063
	s_mov_b32 s59, s11                                         // 000000003164: BEBB000B
	s_lshl_b32 s60, s7, 10                                     // 000000003168: 8E3C8A07
	v_lshlrev_b32_e32 v202, 4, v0                              // 00000000316C: 25940084
	v_add_u32_e32 v202, s60, v202                              // 000000003170: 6995943C
	v_mov_b32_e32 v204, 0                                      // 000000003174: 7F980280
	v_mov_b32_e32 v205, 0                                      // 000000003178: 7F9A0280
	v_mov_b32_e32 v206, 0                                      // 00000000317C: 7F9C0280
	v_mov_b32_e32 v207, 0                                      // 000000003180: 7F9E0280
	s_mul_i32 s61, s66, s64                                    // 000000003184: 923D4042
	s_add_u32 s61, s61, 0x7ff                                  // 000000003188: 803DFF3D 000007FF
	s_lshr_b32 s61, s61, 11                                    // 000000003190: 8F3D8B3D
	s_mov_b32 s60, 0                                           // 000000003194: BEBC0080

0000000000003198 <label_00E6>:
	buffer_store_dwordx4 v[204:207], v202, s[56:59], 0 offen sc0 sc1// 000000003198: E07CD000 800ECCCA
	v_add_u32_e32 v202, 0x1000, v202                           // 0000000031A0: 699594FF 00001000
	s_add_u32 s60, s60, 1                                      // 0000000031A8: 803C813C
	s_cmp_lt_u32 s60, s61                                      // 0000000031AC: BF0A3D3C
	s_cbranch_scc1 label_00E6                                  // 0000000031B0: BF85FFF9

00000000000031b4 <label_00ED>:
	s_cmp_eq_u32 s98, 0                                        // 0000000031B4: BF068062
	s_cbranch_scc0 label_00FC                                  // 0000000031B8: BF84000D
	s_waitcnt vmcnt(0)                                         // 0000000031BC: BF8C0F70
	s_cmp_eq_u32 s7, 0                                         // 0000000031C0: BF068007
	s_cbranch_scc0 label_00FB                                  // 0000000031C4: BF840009
	s_mov_b64 exec, 1                                          // 0000000031C8: BEFE0181
	v_mov_b32_e32 v192, s99                                    // 0000000031CC: 7F800263
	v_mov_b32_e32 v196, s96                                    // 0000000031D0: 7F880260
	s_mov_b32 s61, 0xdeadc0de                                  // 0000000031D4: BEBD00FF DEADC0DE
	v_mov_b32_e32 v197, s61                                    // 0000000031DC: 7F8A023D
	global_store_dwordx2 v192, v[196:197], s[8:9] sc0 sc1      // 0000000031E0: DE758000 0008C4C0
	s_mov_b64 exec, -1                                         // 0000000031E8: BEFE01C1

00000000000031ec <label_00FB>:
	s_barrier                                                  // 0000000031EC: BF8A0000

00000000000031f0 <label_00FC>:
	s_mov_b32 s87, s4                                          // 0000000031F0: BED70004
	s_waitcnt lgkmcnt(0)                                       // 0000000031F4: BF8CC07F
	s_mov_b32 s83, -1                                          // 0000000031F8: BED300C1
	s_mov_b32 s84, -1                                          // 0000000031FC: BED400C1
	s_mov_b32 s85, -1                                          // 000000003200: BED500C1
	s_cmp_eq_u32 s7, 0                                         // 000000003204: BF068007
	s_cselect_b32 s82, s87, -1                                 // 000000003208: 8552C157
	v_and_b32_e32 v53, 15, v0                                  // 00000000320C: 266A008F
	v_cmp_eq_u32_e32 vcc, 0, v53                               // 000000003210: 7D946A80
	v_mov_b32_e32 v54, s87                                     // 000000003214: 7E6C0257
	v_mov_b32_e32 v55, -1                                      // 000000003218: 7E6E02C1
	v_cndmask_b32_e32 v7, v55, v54, vcc                        // 00000000321C: 000E6D37
	v_mov_b32_e32 v8, -1                                       // 000000003220: 7E1002C1
	v_mov_b32_e32 v54, s88                                     // 000000003224: 7E6C0258
	v_mov_b32_e32 v55, 0                                       // 000000003228: 7E6E0280
	v_cndmask_b32_e32 v23, v55, v54, vcc                       // 00000000322C: 002E6D37
	s_lshr_b32 s60, s7, 1                                      // 000000003230: 8F3C8107
	s_lshl_b32 s60, s60, 3                                     // 000000003234: 8E3C833C
	s_and_b32 s61, s7, 1                                       // 000000003238: 863D8107
	s_lshl_b32 s61, s61, 1                                     // 00000000323C: 8E3D813D
	s_or_b32 s60, s60, s61                                     // 000000003240: 873C3D3C
	v_lshrrev_b32_e32 v46, 3, v0                               // 000000003244: 205C0083
	v_and_b32_e32 v47, 2, v46                                  // 000000003248: 265E5C82
	v_lshlrev_b32_e32 v47, 1, v47                              // 00000000324C: 245E5E81
	v_and_b32_e32 v48, 1, v46                                  // 000000003250: 26605C81
	v_or_b32_e32 v47, v47, v48                                 // 000000003254: 285E612F
	v_add_u32_e32 v47, s60, v47                                // 000000003258: 685E5E3C
	v_and_b32_e32 v48, 3, v0                                   // 00000000325C: 26600083
	v_lshlrev_b32_e32 v48, 4, v48                              // 000000003260: 24606084
	v_add_u32_e32 v47, v47, v48                                // 000000003264: 685E612F
	v_lshrrev_b32_e32 v46, 5, v0                               // 000000003268: 205C0085
	v_lshlrev_b32_e32 v46, 8, v46                              // 00000000326C: 245C5C88
	v_lshlrev_b32_e32 v47, 2, v47                              // 000000003270: 245E5E82
	v_add_u32_e32 v30, v46, v47                                // 000000003274: 683C5F2E
	s_mov_b32 s80, 0                                           // 000000003278: BED00080
	s_mov_b32 s81, s64                                         // 00000000327C: BED10040
	s_waitcnt lgkmcnt(0)                                       // 000000003280: BF8CC07F
	s_mul_i32 s62, s87, s68                                    // 000000003284: 923E4457
	s_mov_b64 exec, -1                                         // 000000003288: BEFE01C1
	v_mov_b32_e32 v31, 0x7fffffff                              // 00000000328C: 7E3E02FF 7FFFFFFF
	s_cmp_eq_u32 s7, 0                                         // 000000003294: BF068007
	s_cselect_b32 s60, 0xff, 0                                 // 000000003298: 853C80FF 000000FF
	s_cselect_b32 s61, 0xff, 0                                 // 0000000032A0: 853D80FF 000000FF
	s_mov_b64 exec, s[60:61]                                   // 0000000032A8: BEFE013C
	v_mov_b32_e32 v31, s62                                     // 0000000032AC: 7E3E023E
	s_mov_b64 exec, -1                                         // 0000000032B0: BEFE01C1
	v_and_b32_e64 v46, v0, 7                                   // 0000000032B4: D113002E 00010F00
	v_lshlrev_b32_e32 v46, 5, v46                              // 0000000032BC: 245C5C85
	v_add_u32_e32 v31, v31, v46                                // 0000000032C0: 683E5D1F
	s_mov_b32 s62, 0x100                                       // 0000000032C4: BEBE00FF 00000100
	s_mov_b32 s60, 0                                           // 0000000032CC: BEBC0080
	s_mov_b32 s61, -1                                          // 0000000032D0: BEBD00C1
	s_mov_b64 exec, s[60:61]                                   // 0000000032D4: BEFE013C
	v_add_u32_e64 v31, v31, s62                                // 0000000032D8: D134001F 00007D1F
	s_mov_b64 exec, -1                                         // 0000000032E0: BEFE01C1
	v_lshlrev_b32_e32 v46, 2, v0                               // 0000000032E4: 245C0082
	s_mul_i32 s60, s82, s71                                    // 0000000032E8: 923C4752
	v_add_u32_e64 v80, v46, s60                                // 0000000032EC: D1340050 0000792E
	v_mov_b32_e32 v81, 0                                       // 0000000032F4: 7EA20280
	s_mul_i32 s60, s83, s71                                    // 0000000032F8: 923C4753
	v_add_u32_e64 v82, v46, s60                                // 0000000032FC: D1340052 0000792E
	v_mov_b32_e32 v83, 0                                       // 000000003304: 7EA60280
	s_mul_i32 s60, s84, s71                                    // 000000003308: 923C4754
	v_add_u32_e64 v84, v46, s60                                // 00000000330C: D1340054 0000792E
	v_mov_b32_e32 v85, 0                                       // 000000003314: 7EAA0280
	s_mul_i32 s60, s85, s71                                    // 000000003318: 923C4755
	v_add_u32_e64 v86, v46, s60                                // 00000000331C: D1340056 0000792E
	v_mov_b32_e32 v87, 0                                       // 000000003324: 7EAE0280
	s_mul_i32 s60, s7, 0x420                                   // 000000003328: 923CFF07 00000420
	s_add_u32 s50, 0, s60                                      // 000000003330: 80323C80
	s_add_u32 s51, 0x1500, s50                                 // 000000003334: 803332FF 00001500
	v_and_b32_e32 v46, 15, v0                                  // 00000000333C: 265C008F
	v_lshrrev_b32_e32 v47, 3, v46                              // 000000003340: 205E5C83
	v_mul_lo_u32 v47, 2, v47                                   // 000000003344: D285002F 00025E82
	v_and_b32_e32 v46, 3, v0                                   // 00000000334C: 265C0083
	v_lshrrev_b32_e32 v48, 1, v46                              // 000000003350: 20605C81
	v_add_u32_e32 v46, v47, v48                                // 000000003354: 685C612F
	v_mul_i32_i24_e32 v2, 0x420, v46                           // 000000003358: 0C045CFF 00000420
	v_and_b32_e32 v46, 7, v0                                   // 000000003360: 265C0087
	v_lshrrev_b32_e32 v47, 2, v46                              // 000000003364: 205E5C82
	v_mul_i32_i24_e32 v47, 0x100, v47                          // 000000003368: 0C5E5EFF 00000100
	v_and_b32_e32 v46, 1, v0                                   // 000000003370: 265C0081
	v_mul_i32_i24_e32 v48, 0x80, v46                           // 000000003374: 0C605CFF 00000080
	v_add_u32_e32 v2, v47, v2                                  // 00000000337C: 6804052F
	v_add_u32_e32 v2, v48, v2                                  // 000000003380: 68040530
	v_lshrrev_b32_e32 v46, 4, v0                               // 000000003384: 205C0084
	v_mul_lo_u32 v46, 16, v46                                  // 000000003388: D285002E 00025C90
	v_add_u32_e32 v2, v46, v2                                  // 000000003390: 6804052E
	s_mul_i32 s60, s2, 0x100                                   // 000000003394: 923CFF02 00000100
	s_mul_i32 s60, s60, s69                                    // 00000000339C: 923C453C
	s_mul_i32 s61, s5, s72                                     // 0000000033A0: 923D4805
	s_add_u32 s60, s61, s60                                    // 0000000033A4: 803C3C3D
	s_add_u32 s24, s60, s24                                    // 0000000033A8: 8018183C
	s_addc_u32 s25, 0, s25                                     // 0000000033AC: 82191980
	s_mul_i32 s60, s7, 16                                      // 0000000033B0: 923C9007
	s_mul_i32 s60, s60, s69                                    // 0000000033B4: 923C453C
	v_lshlrev_b32_e32 v33, 4, v0                               // 0000000033B8: 24420084
	v_add_u32_e32 v33, s60, v33                                // 0000000033BC: 6842423C
	s_mul_i32 s60, 64, s69                                     // 0000000033C0: 923C45C0
	v_add_u32_e32 v34, s60, v33                                // 0000000033C4: 6844423C
	v_add_u32_e32 v35, s60, v34                                // 0000000033C8: 6846443C
	v_add_u32_e32 v36, s60, v35                                // 0000000033CC: 6848463C
	s_mov_b32 s92, s24                                         // 0000000033D0: BEDC0018
	s_mov_b32 s93, s25                                         // 0000000033D4: BEDD0019
	s_mov_b32 s94, s26                                         // 0000000033D8: BEDE001A
	s_mov_b32 s95, s27                                         // 0000000033DC: BEDF001B
	s_mul_i32 s60, s69, s65                                    // 0000000033E0: 923C4145
	s_add_u32 s92, s60, s92                                    // 0000000033E4: 805C5C3C
	s_addc_u32 s93, 0, s93                                     // 0000000033E8: 825D5D80
	s_mul_i32 s60, s2, 0x1000                                  // 0000000033EC: 923CFF02 00001000
	s_mul_i32 s61, s5, s73                                     // 0000000033F4: 923D4905
	s_add_u32 s60, s61, s60                                    // 0000000033F8: 803C3C3D
	s_add_u32 s12, s60, s12                                    // 0000000033FC: 800C0C3C
	s_addc_u32 s13, 0, s13                                     // 000000003400: 820D0D80
	s_mul_i32 s60, s7, 16                                      // 000000003404: 923C9007
	s_mul_i32 s60, s60, s70                                    // 000000003408: 923C463C
	v_lshlrev_b32_e32 v37, 4, v0                               // 00000000340C: 244A0084
	v_add_u32_e32 v37, s60, v37                                // 000000003410: 684A4A3C
	s_mul_i32 s60, 64, s70                                     // 000000003414: 923C46C0
	v_add_u32_e32 v38, s60, v37                                // 000000003418: 684C4A3C
	v_add_u32_e32 v39, s60, v38                                // 00000000341C: 684E4C3C
	v_add_u32_e32 v40, s60, v39                                // 000000003420: 68504E3C
	s_mul_i32 s60, s70, 0x100                                  // 000000003424: 923CFF46 00000100
	s_mov_b32 s78, 0x800                                       // 00000000342C: BECE00FF 00000800
	s_mul_i32 s61, s78, 1                                      // 000000003434: 923D814E
	s_sub_u32 s56, s60, s61                                    // 000000003438: 80B83D3C
	s_lshr_b32 s60, s64, 7                                     // 00000000343C: 8F3C8740
	s_mul_i32 s61, s60, 4                                      // 000000003440: 923D843C
	v_and_b32_e64 v11, v0, 1                                   // 000000003444: D113000B 00010300
	v_mul_lo_u32 v11, v11, s61                                 // 00000000344C: D285000B 00007B0B
	v_and_b32_e64 v46, v0, 3                                   // 000000003454: D113002E 00010700
	v_lshrrev_b32_e32 v46, 1, v46                              // 00000000345C: 205C5C81
	v_mul_lo_u32 v46, 4, v46                                   // 000000003460: D285002E 00025C84
	v_add_u32_e32 v11, v11, v46                                // 000000003468: 68165D0B
	s_lshr_b32 s60, s65, 7                                     // 00000000346C: 8F3C8741
	s_mul_i32 s60, s60, s61                                    // 000000003470: 923C3D3C
	v_add_u32_e64 v13, v11, s60                                // 000000003474: D134000D 0000790B
	s_mov_b32 s4, 8                                            // 00000000347C: BE840088
	s_mul_i32 s60, s2, 2                                       // 000000003480: 923C8202
	s_mul_i32 s60, s60, s61                                    // 000000003484: 923C3D3C
	s_mul_i32 s61, s5, s74                                     // 000000003488: 923D4A05
	s_add_u32 s61, s61, s60                                    // 00000000348C: 803D3C3D
	s_add_u32 s32, s61, s32                                    // 000000003490: 8020203D
	s_addc_u32 s33, 0, s33                                     // 000000003494: 82212180
	s_lshr_b32 s60, s65, 7                                     // 000000003498: 8F3C8741
	s_mul_i32 s61, s60, 4                                      // 00000000349C: 923D843C
	s_mul_i32 s60, s2, 2                                       // 0000000034A0: 923C8202
	s_mul_i32 s60, s60, 4                                      // 0000000034A4: 923C843C
	v_and_b32_e64 v6, v0, 1                                    // 0000000034A8: D1130006 00010300
	v_mul_lo_u32 v6, v6, s61                                   // 0000000034B0: D2850006 00007B06
	v_and_b32_e64 v46, v0, 3                                   // 0000000034B8: D113002E 00010700
	v_lshrrev_b32_e32 v46, 1, v46                              // 0000000034C0: 205C5C81
	v_mul_lo_u32 v46, 4, v46                                   // 0000000034C4: D285002E 00025C84
	v_add_i32 v6, v6, v46                                      // 0000000034CC: D29C0006 00025D06
	v_add_i32 v6, v6, s60                                      // 0000000034D4: D29C0006 00007906
	s_mul_i32 s60, s5, s75                                     // 0000000034DC: 923C4B05
	s_add_u32 s16, s60, s16                                    // 0000000034E0: 8010103C
	s_addc_u32 s17, 0, s17                                     // 0000000034E4: 82111180
	s_mov_b32 s57, 0x200                                       // 0000000034E8: BEB900FF 00000200
	s_mov_b32 s58, 0x1000                                      // 0000000034F0: BEBA00FF 00001000
	s_mul_i32 s79, 2, s61                                      // 0000000034F8: 924F3D82
	s_mov_b32 s59, 0                                           // 0000000034FC: BEBB0080
	s_mov_b32 s90, s58                                         // 000000003500: BEDA003A
	s_mov_b32 s53, 0x7060302                                   // 000000003504: BEB500FF 07060302
	s_mov_b32 s54, 0x400                                       // 00000000350C: BEB600FF 00000400
	s_mov_b32 s55, 0x40100                                     // 000000003514: BEB700FF 00040100
	s_mov_b32 s63, 0x4020100                                   // 00000000351C: BEBF00FF 04020100
	s_mov_b32 s6, 0x3fb8aa3b                                   // 000000003524: BE8600FF 3FB8AA3B
	s_mov_b32 s77, 0xbd92220c                                  // 00000000352C: BECD00FF BD92220C
	s_mov_b32 m0, s50                                          // 000000003534: BEFC0032
	v_mov_b32_e32 v1, 0xbfcc4231                               // 000000003538: 7E0202FF BFCC4231
	v_mov_b32_e32 v42, 0xffff0000                              // 000000003540: 7E5402FF FFFF0000
	v_mov_b32_e32 v43, 0x7fff0000                              // 000000003548: 7E5602FF 7FFF0000
	v_mov_b32_e32 v44, 0x7fff                                  // 000000003550: 7E5802FF 00007FFF
	s_waitcnt vmcnt(0) expcnt(0) lgkmcnt(0)                    // 000000003558: BF8C0000
	v_and_b32_e32 v7, 0xffffff, v7                             // 00000000355C: 260E0EFF 00FFFFFF
	v_and_b32_e32 v8, 0xffffff, v8                             // 000000003564: 261010FF 00FFFFFF
	v_lshlrev_b32_e32 v7, 2, v7                                // 00000000356C: 240E0E82
	v_lshlrev_b32_e32 v8, 2, v8                                // 000000003570: 24101082
	v_lshlrev_b32_e32 v3, 2, v0                                // 000000003574: 24060082
	buffer_load_dwordx4 v[160:163], v31, s[20:23], 0 offen     // 000000003578: E05C1000 8005A01F
	buffer_load_dwordx4 v[164:167], v31, s[20:23], 0 offen offset:16// 000000003580: E05C1010 8005A41F
	s_add_u32 s20, s57, s20                                    // 000000003588: 80141439
	s_addc_u32 s21, 0, s21                                     // 00000000358C: 82151580
	buffer_load_dword v19, v11, s[32:35], 0 offen              // 000000003590: E0501000 8008130B
	buffer_load_dword v21, v13, s[32:35], 0 offen              // 000000003598: E0501000 8008150D
	s_add_u32 s60, 0x100, s80                                  // 0000000035A0: 803C50FF 00000100
	s_cmp_lt_u32 s60, s81                                      // 0000000035A8: BF0A513C
	s_cselect_b32 s4, s4, 0                                    // 0000000035AC: 85048004
	s_add_u32 s32, s4, s32                                     // 0000000035B0: 80202004
	s_addc_u32 s33, 0, s33                                     // 0000000035B4: 82212180
	buffer_load_dwordx4 a[0:3], v33, s[24:27], 0 offen         // 0000000035B8: E05C1000 80860021
	buffer_load_dwordx4 a[4:7], v33, s[24:27], 0 offen offset:1024// 0000000035C0: E05C1400 80860421
	buffer_load_dwordx4 a[8:11], v34, s[24:27], 0 offen        // 0000000035C8: E05C1000 80860822
	buffer_load_dwordx4 a[12:15], v34, s[24:27], 0 offen offset:1024// 0000000035D0: E05C1400 80860C22
	buffer_load_dwordx4 a[16:19], v35, s[24:27], 0 offen       // 0000000035D8: E05C1000 80861023
	buffer_load_dwordx4 a[20:23], v35, s[24:27], 0 offen offset:1024// 0000000035E0: E05C1400 80861423
	buffer_load_dwordx4 a[24:27], v36, s[24:27], 0 offen       // 0000000035E8: E05C1000 80861824
	buffer_load_dwordx4 a[28:31], v36, s[24:27], 0 offen offset:1024// 0000000035F0: E05C1400 80861C24
	buffer_load_dwordx4 a[32:35], v33, s[24:27], 0 offen offset:2048// 0000000035F8: E05C1800 80862021
	buffer_load_dwordx4 a[36:39], v33, s[24:27], 0 offen offset:3072// 000000003600: E05C1C00 80862421
	buffer_load_dwordx4 a[40:43], v34, s[24:27], 0 offen offset:2048// 000000003608: E05C1800 80862822
	buffer_load_dwordx4 a[44:47], v34, s[24:27], 0 offen offset:3072// 000000003610: E05C1C00 80862C22
	buffer_load_dwordx4 a[48:51], v35, s[24:27], 0 offen offset:2048// 000000003618: E05C1800 80863023
	buffer_load_dwordx4 a[52:55], v35, s[24:27], 0 offen offset:3072// 000000003620: E05C1C00 80863423
	buffer_load_dwordx4 a[56:59], v36, s[24:27], 0 offen offset:2048// 000000003628: E05C1800 80863824
	buffer_load_dwordx4 a[60:63], v36, s[24:27], 0 offen offset:3072// 000000003630: E05C1C00 80863C24
	buffer_load_dwordx4 a[64:67], v33, s[92:95], 0 offen       // 000000003638: E05C1000 80974021
	buffer_load_dwordx4 a[68:71], v33, s[92:95], 0 offen offset:1024// 000000003640: E05C1400 80974421
	buffer_load_dwordx4 a[72:75], v34, s[92:95], 0 offen       // 000000003648: E05C1000 80974822
	buffer_load_dwordx4 a[76:79], v34, s[92:95], 0 offen offset:1024// 000000003650: E05C1400 80974C22
	buffer_load_dwordx4 a[80:83], v35, s[92:95], 0 offen       // 000000003658: E05C1000 80975023
	buffer_load_dwordx4 a[84:87], v35, s[92:95], 0 offen offset:1024// 000000003660: E05C1400 80975423
	buffer_load_dwordx4 a[88:91], v36, s[92:95], 0 offen       // 000000003668: E05C1000 80975824
	buffer_load_dwordx4 a[92:95], v36, s[92:95], 0 offen offset:1024// 000000003670: E05C1400 80975C24
	buffer_load_dwordx4 a[96:99], v33, s[92:95], 0 offen offset:2048// 000000003678: E05C1800 80976021
	buffer_load_dwordx4 a[100:103], v33, s[92:95], 0 offen offset:3072// 000000003680: E05C1C00 80976421
	buffer_load_dwordx4 a[104:107], v34, s[92:95], 0 offen offset:2048// 000000003688: E05C1800 80976822
	buffer_load_dwordx4 a[108:111], v34, s[92:95], 0 offen offset:3072// 000000003690: E05C1C00 80976C22
	buffer_load_dwordx4 a[112:115], v35, s[92:95], 0 offen offset:2048// 000000003698: E05C1800 80977023
	buffer_load_dwordx4 a[116:119], v35, s[92:95], 0 offen offset:3072// 0000000036A0: E05C1C00 80977423
	buffer_load_dwordx4 a[120:123], v36, s[92:95], 0 offen offset:2048// 0000000036A8: E05C1800 80977824
	buffer_load_dwordx4 a[124:127], v36, s[92:95], 0 offen offset:3072// 0000000036B0: E05C1C00 80977C24
	s_add_u32 s24, s58, s24                                    // 0000000036B8: 8018183A
	s_addc_u32 s25, 0, s25                                     // 0000000036BC: 82191980
	s_add_u32 s92, s90, s92                                    // 0000000036C0: 805C5C5A
	s_addc_u32 s93, 0, s93                                     // 0000000036C4: 825D5D80
	v_mov_b32_e32 v128, 0                                      // 0000000036C8: 7F000280
	v_mov_b32_e32 v64, 0                                       // 0000000036CC: 7E800280
	v_mov_b32_e32 v129, 0                                      // 0000000036D0: 7F020280
	v_mov_b32_e32 v65, 0                                       // 0000000036D4: 7E820280
	v_mov_b32_e32 v130, 0                                      // 0000000036D8: 7F040280
	v_mov_b32_e32 v66, 0                                       // 0000000036DC: 7E840280
	v_mov_b32_e32 v131, 0                                      // 0000000036E0: 7F060280
	v_mov_b32_e32 v67, 0                                       // 0000000036E4: 7E860280
	v_mov_b32_e32 v132, 0                                      // 0000000036E8: 7F080280
	v_mov_b32_e32 v68, 0                                       // 0000000036EC: 7E880280
	v_mov_b32_e32 v133, 0                                      // 0000000036F0: 7F0A0280
	v_mov_b32_e32 v69, 0                                       // 0000000036F4: 7E8A0280
	v_mov_b32_e32 v134, 0                                      // 0000000036F8: 7F0C0280
	v_mov_b32_e32 v70, 0                                       // 0000000036FC: 7E8C0280
	v_mov_b32_e32 v135, 0                                      // 000000003700: 7F0E0280
	v_mov_b32_e32 v71, 0                                       // 000000003704: 7E8E0280
	v_mov_b32_e32 v136, 0                                      // 000000003708: 7F100280
	v_mov_b32_e32 v72, 0                                       // 00000000370C: 7E900280
	v_mov_b32_e32 v137, 0                                      // 000000003710: 7F120280
	v_mov_b32_e32 v73, 0                                       // 000000003714: 7E920280
	v_mov_b32_e32 v138, 0                                      // 000000003718: 7F140280
	v_mov_b32_e32 v74, 0                                       // 00000000371C: 7E940280
	v_mov_b32_e32 v139, 0                                      // 000000003720: 7F160280
	v_mov_b32_e32 v75, 0                                       // 000000003724: 7E960280
	v_mov_b32_e32 v140, 0                                      // 000000003728: 7F180280
	v_mov_b32_e32 v76, 0                                       // 00000000372C: 7E980280
	v_mov_b32_e32 v141, 0                                      // 000000003730: 7F1A0280
	v_mov_b32_e32 v77, 0                                       // 000000003734: 7E9A0280
	v_mov_b32_e32 v142, 0                                      // 000000003738: 7F1C0280
	v_mov_b32_e32 v78, 0                                       // 00000000373C: 7E9C0280
	v_mov_b32_e32 v143, 0                                      // 000000003740: 7F1E0280
	v_mov_b32_e32 v79, 0                                       // 000000003744: 7E9E0280
	v_mov_b32_e32 v144, 0                                      // 000000003748: 7F200280
	v_mov_b32_e32 v80, 0                                       // 00000000374C: 7EA00280
	v_mov_b32_e32 v145, 0                                      // 000000003750: 7F220280
	v_mov_b32_e32 v81, 0                                       // 000000003754: 7EA20280
	v_mov_b32_e32 v146, 0                                      // 000000003758: 7F240280
	v_mov_b32_e32 v82, 0                                       // 00000000375C: 7EA40280
	v_mov_b32_e32 v147, 0                                      // 000000003760: 7F260280
	v_mov_b32_e32 v83, 0                                       // 000000003764: 7EA60280
	v_mov_b32_e32 v148, 0                                      // 000000003768: 7F280280
	v_mov_b32_e32 v84, 0                                       // 00000000376C: 7EA80280
	v_mov_b32_e32 v149, 0                                      // 000000003770: 7F2A0280
	v_mov_b32_e32 v85, 0                                       // 000000003774: 7EAA0280
	v_mov_b32_e32 v150, 0                                      // 000000003778: 7F2C0280
	v_mov_b32_e32 v86, 0                                       // 00000000377C: 7EAC0280
	v_mov_b32_e32 v151, 0                                      // 000000003780: 7F2E0280
	v_mov_b32_e32 v87, 0                                       // 000000003784: 7EAE0280
	v_mov_b32_e32 v152, 0                                      // 000000003788: 7F300280
	v_mov_b32_e32 v88, 0                                       // 00000000378C: 7EB00280
	v_mov_b32_e32 v153, 0                                      // 000000003790: 7F320280
	v_mov_b32_e32 v89, 0                                       // 000000003794: 7EB20280
	v_mov_b32_e32 v154, 0                                      // 000000003798: 7F340280
	v_mov_b32_e32 v90, 0                                       // 00000000379C: 7EB40280
	v_mov_b32_e32 v155, 0                                      // 0000000037A0: 7F360280
	v_mov_b32_e32 v91, 0                                       // 0000000037A4: 7EB60280
	v_mov_b32_e32 v156, 0                                      // 0000000037A8: 7F380280
	v_mov_b32_e32 v92, 0                                       // 0000000037AC: 7EB80280
	v_mov_b32_e32 v157, 0                                      // 0000000037B0: 7F3A0280
	v_mov_b32_e32 v93, 0                                       // 0000000037B4: 7EBA0280
	v_mov_b32_e32 v158, 0                                      // 0000000037B8: 7F3C0280
	v_mov_b32_e32 v94, 0                                       // 0000000037BC: 7EBC0280
	v_mov_b32_e32 v159, 0                                      // 0000000037C0: 7F3E0280
	v_mov_b32_e32 v95, 0                                       // 0000000037C4: 7EBE0280
	v_lshrrev_b32_e32 v46, 4, v0                               // 0000000037C8: 205C0084
	v_mul_lo_u32 v4, 34, v46                                   // 0000000037CC: D2850004 00025CA2
	v_and_b32_e32 v46, 15, v0                                  // 0000000037D4: 265C008F
	v_mul_lo_u32 v47, 2, v46                                   // 0000000037D8: D285002F 00025C82
	v_add_u32_e32 v4, v47, v4                                  // 0000000037E0: 6808092F
	s_mul_i32 s60, s7, 0x88                                    // 0000000037E4: 923CFF07 00000088
	v_add_u32_e32 v4, s60, v4                                  // 0000000037EC: 6808083C
	v_lshlrev_b32_e32 v4, 2, v4                                // 0000000037F0: 24080882
	v_lshrrev_b32_e32 v46, 1, v0                               // 0000000037F4: 205C0081
	v_mul_lo_u32 v5, 34, v46                                   // 0000000037F8: D2850005 00025CA2
	v_and_b32_e32 v47, 1, v0                                   // 000000003800: 265E0081
	v_add_u32_e32 v5, v47, v5                                  // 000000003804: 680A0B2F
	s_mov_b32 s60, 0                                           // 000000003808: BEBC0080
	s_lshr_b32 s61, s7, 1                                      // 00000000380C: 8F3D8107
	s_mul_i32 s61, s61, 8                                      // 000000003810: 923D883D
	s_add_u32 s60, s61, s60                                    // 000000003814: 803C3C3D
	s_and_b32 s61, s7, 1                                       // 000000003818: 863D8107
	s_mul_i32 s61, s61, 2                                      // 00000000381C: 923D823D
	s_add_u32 s60, s61, s60                                    // 000000003820: 803C3C3D
	s_mul_i32 s60, 2, s60                                      // 000000003824: 923C3C82
	v_add_u32_e32 v5, s60, v5                                  // 000000003828: 680A0A3C
	v_lshlrev_b32_e32 v5, 2, v5                                // 00000000382C: 240A0A82
	s_waitcnt vmcnt(32)                                        // 000000003830: BF8C8F70
	v_mov_b32_e32 v26, 0                                       // 000000003834: 7E340280
	v_lshlrev_b32_e32 v46, 16, v160                            // 000000003838: 245D4090
	v_and_b32_e32 v47, 0xffff0000, v160                        // 00000000383C: 265F40FF FFFF0000
	v_max3_f32 v26, |v47|, |v46|, v26                          // 000000003844: D1D3031A 046A5D2F
	v_lshlrev_b32_e32 v46, 16, v161                            // 00000000384C: 245D4290
	v_and_b32_e32 v47, 0xffff0000, v161                        // 000000003850: 265F42FF FFFF0000
	v_max3_f32 v26, |v47|, |v46|, v26                          // 000000003858: D1D3031A 046A5D2F
	v_lshlrev_b32_e32 v46, 16, v162                            // 000000003860: 245D4490
	v_and_b32_e32 v47, 0xffff0000, v162                        // 000000003864: 265F44FF FFFF0000
	v_max3_f32 v26, |v47|, |v46|, v26                          // 00000000386C: D1D3031A 046A5D2F
	v_lshlrev_b32_e32 v46, 16, v163                            // 000000003874: 245D4690
	v_and_b32_e32 v47, 0xffff0000, v163                        // 000000003878: 265F46FF FFFF0000
	v_max3_f32 v26, |v47|, |v46|, v26                          // 000000003880: D1D3031A 046A5D2F
	v_lshlrev_b32_e32 v46, 16, v164                            // 000000003888: 245D4890
	v_and_b32_e32 v47, 0xffff0000, v164                        // 00000000388C: 265F48FF FFFF0000
	v_max3_f32 v26, |v47|, |v46|, v26                          // 000000003894: D1D3031A 046A5D2F
	v_lshlrev_b32_e32 v46, 16, v165                            // 00000000389C: 245D4A90
	v_and_b32_e32 v47, 0xffff0000, v165                        // 0000000038A0: 265F4AFF FFFF0000
	v_max3_f32 v26, |v47|, |v46|, v26                          // 0000000038A8: D1D3031A 046A5D2F
	v_lshlrev_b32_e32 v46, 16, v166                            // 0000000038B0: 245D4C90
	v_and_b32_e32 v47, 0xffff0000, v166                        // 0000000038B4: 265F4CFF FFFF0000
	v_max3_f32 v26, |v47|, |v46|, v26                          // 0000000038BC: D1D3031A 046A5D2F
	v_lshlrev_b32_e32 v46, 16, v167                            // 0000000038C4: 245D4E90
	v_and_b32_e32 v47, 0xffff0000, v167                        // 0000000038C8: 265F4EFF FFFF0000
	v_max3_f32 v26, |v47|, |v46|, v26                          // 0000000038D0: D1D3031A 046A5D2F
	s_barrier                                                  // 0000000038D8: BF8A0000
	v_max_f32_dpp v27, v26, v26 quad_perm:[1,2,3,0] row_mask:0xf bank_mask:0xf// 0000000038DC: 163634FA FF00391A
	s_nop 1                                                    // 0000000038E4: BF800001
	v_max_f32_dpp v46, v27, v27 quad_perm:[2,3,0,1] row_mask:0xf bank_mask:0xf// 0000000038E8: 165C36FA FF004E1B
	s_nop 1                                                    // 0000000038F0: BF800001
	v_max_f32_dpp v26, v46, v46 row_half_mirror row_mask:0xf bank_mask:0xf// 0000000038F4: 16345CFA FF01412E
	v_rcp_f32_e32 v46, v26                                     // 0000000038FC: 7E5C451A
	v_mov_b32_e32 v47, 0x43e00000                              // 000000003900: 7E5E02FF 43E00000
	v_mul_f32_e32 v27, v47, v46                                // 000000003908: 0A365D2F
	v_mov_b32_e32 v26, v27                                     // 00000000390C: 7E34031B
	v_lshlrev_b32_e32 v46, 16, v160                            // 000000003910: 245D4090
	v_and_b32_e32 v47, 0xffff0000, v160                        // 000000003914: 265F40FF FFFF0000
	v_pk_mul_f32 v[46:47], v[46:47], v[26:27]                  // 00000000391C: D3B1402E 1802352E
	v_cvt_pk_fp8_f32 v160, v46, v47                            // 000000003924: D2A200A0 00025F2E
	v_lshlrev_b32_e32 v46, 16, v161                            // 00000000392C: 245D4290
	v_and_b32_e32 v47, 0xffff0000, v161                        // 000000003930: 265F42FF FFFF0000
	v_pk_mul_f32 v[46:47], v[46:47], v[26:27]                  // 000000003938: D3B1402E 1802352E
	v_cvt_pk_fp8_f32 v160, v46, v47 op_sel:[0,0,1]             // 000000003940: D2A240A0 00025F2E
	v_lshlrev_b32_e32 v46, 16, v162                            // 000000003948: 245D4490
	v_and_b32_e32 v47, 0xffff0000, v162                        // 00000000394C: 265F44FF FFFF0000
	v_pk_mul_f32 v[46:47], v[46:47], v[26:27]                  // 000000003954: D3B1402E 1802352E
	v_cvt_pk_fp8_f32 v161, v46, v47                            // 00000000395C: D2A200A1 00025F2E
	v_lshlrev_b32_e32 v46, 16, v163                            // 000000003964: 245D4690
	v_and_b32_e32 v47, 0xffff0000, v163                        // 000000003968: 265F46FF FFFF0000
	v_pk_mul_f32 v[46:47], v[46:47], v[26:27]                  // 000000003970: D3B1402E 1802352E
	v_cvt_pk_fp8_f32 v161, v46, v47 op_sel:[0,0,1]             // 000000003978: D2A240A1 00025F2E
	v_lshlrev_b32_e32 v46, 16, v164                            // 000000003980: 245D4890
	v_and_b32_e32 v47, 0xffff0000, v164                        // 000000003984: 265F48FF FFFF0000
	v_pk_mul_f32 v[46:47], v[46:47], v[26:27]                  // 00000000398C: D3B1402E 1802352E
	v_cvt_pk_fp8_f32 v162, v46, v47                            // 000000003994: D2A200A2 00025F2E
	v_lshlrev_b32_e32 v46, 16, v165                            // 00000000399C: 245D4A90
	v_and_b32_e32 v47, 0xffff0000, v165                        // 0000000039A0: 265F4AFF FFFF0000
	v_pk_mul_f32 v[46:47], v[46:47], v[26:27]                  // 0000000039A8: D3B1402E 1802352E
	v_cvt_pk_fp8_f32 v162, v46, v47 op_sel:[0,0,1]             // 0000000039B0: D2A240A2 00025F2E
	v_lshlrev_b32_e32 v46, 16, v166                            // 0000000039B8: 245D4C90
	v_and_b32_e32 v47, 0xffff0000, v166                        // 0000000039BC: 265F4CFF FFFF0000
	v_pk_mul_f32 v[46:47], v[46:47], v[26:27]                  // 0000000039C4: D3B1402E 1802352E
	v_cvt_pk_fp8_f32 v163, v46, v47                            // 0000000039CC: D2A200A3 00025F2E
	v_lshlrev_b32_e32 v46, 16, v167                            // 0000000039D4: 245D4E90
	v_and_b32_e32 v47, 0xffff0000, v167                        // 0000000039D8: 265F4EFF FFFF0000
	v_pk_mul_f32 v[46:47], v[46:47], v[26:27]                  // 0000000039E0: D3B1402E 1802352E
	v_cvt_pk_fp8_f32 v163, v46, v47 op_sel:[0,0,1]             // 0000000039E8: D2A240A3 00025F2E
	v_lshlrev_b32_e32 v46, 4, v0                               // 0000000039F0: 245C0084
	v_add_u32_e64 v46, v46, s50                                // 0000000039F4: D134002E 0000652E
	ds_write_b128 v46, v[160:163]                              // 0000000039FC: D9BE0000 0000A02E
	v_rcp_f32_e32 v28, v27                                     // 000000003A04: 7E38451B
	v_add_u32_e32 v46, 0, v30                                  // 000000003A08: 685C3C80
	s_mov_b64 s[60:61], exec                                   // 000000003A0C: BEBC017E
	s_mov_b32 s62, 0xf0f0f0f                                   // 000000003A10: BEBE00FF 0F0F0F0F
	s_mov_b32 s63, 0xf0f0f0f                                   // 000000003A18: BEBF00FF 0F0F0F0F
	s_mov_b64 exec, s[62:63]                                   // 000000003A20: BEFE013E
	ds_write_b32 v46, v28 offset:4352                          // 000000003A24: D81A1100 00001C2E
	s_mov_b64 exec, s[60:61]                                   // 000000003A2C: BEFE013C
	s_waitcnt lgkmcnt(0)                                       // 000000003A30: BF8CC07F
	s_barrier                                                  // 000000003A34: BF8A0000
	ds_read_b128 v[160:163], v2                                // 000000003A38: D9FE0000 A0000002
	ds_read_b128 v[164:167], v2 offset:64                      // 000000003A40: D9FE0040 A4000002
	ds_read_b128 v[168:171], v2 offset:512                     // 000000003A48: D9FE0200 A8000002
	ds_read_b128 v[172:175], v2 offset:576                     // 000000003A50: D9FE0240 AC000002
	ds_read_b32 v15, v3 offset:4352                            // 000000003A58: D86C1100 0F000003
	ds_read_b32 v16, v3 offset:4608                            // 000000003A60: D86C1200 10000003
	ds_read_b32 v17, v3 offset:4864                            // 000000003A68: D86C1300 11000003
	ds_read_b32 v18, v3 offset:5120                            // 000000003A70: D86C1400 12000003
	s_cmp_eq_u32 s98, 1                                        // 000000003A78: BF068162
	s_cbranch_scc0 label_0332                                  // 000000003A7C: BF840012
	s_cmp_eq_u32 s7, 0                                         // 000000003A80: BF068007
	s_cbranch_scc0 label_0331                                  // 000000003A84: BF84000F
	s_mov_b64 exec, 1                                          // 000000003A88: BEFE0181
	s_mov_b32 s61, 0xdeadc0de                                  // 000000003A8C: BEBD00FF DEADC0DE

0000000000003a94 <label_0325>:
	s_sleep 2                                                  // 000000003A94: BF8E0002
	v_mov_b32_e32 v192, s99                                    // 000000003A98: 7F800263
	global_load_dwordx2 v[200:201], v192, s[8:9] sc0 sc1       // 000000003A9C: DE558000 C80800C0
	s_waitcnt vmcnt(0)                                         // 000000003AA4: BF8C0F70
	v_readfirstlane_b32 s60, v200                              // 000000003AA8: 7E7805C8
	v_readfirstlane_b32 s62, v201                              // 000000003AAC: 7E7C05C9
	s_cmp_eq_u32 s62, s61                                      // 000000003AB0: BF063D3E
	s_cbranch_scc0 label_0325                                  // 000000003AB4: BF84FFF7
	s_cmp_eq_u32 s60, s96                                      // 000000003AB8: BF06603C
	s_cbranch_scc0 label_0325                                  // 000000003ABC: BF84FFF5
	s_mov_b64 exec, -1                                         // 000000003AC0: BEFE01C1

0000000000003ac4 <label_0331>:
	s_barrier                                                  // 000000003AC4: BF8A0000

0000000000003ac8 <label_0332>:
	s_cmp_lt_i32 s7, 2                                         // 000000003AC8: BF048207
	s_cbranch_scc0 label_0CF8                                  // 000000003ACC: BF8409C4

0000000000003ad0 <label_0334>:
	s_waitcnt vmcnt(28) lgkmcnt(0)                             // 000000003AD0: BF8C407C
	s_barrier                                                  // 000000003AD4: BF8A0000
	v_mfma_f32_16x16x128_f8f6f4 v[144:147], a[0:7], v[160:167], 0// 000000003AD8: D3AD0090 0A034100
	v_mfma_f32_16x16x128_f8f6f4 v[148:151], a[8:15], v[160:167], 0// 000000003AE0: D3AD0094 0A034108
	buffer_load_dwordx4 v[176:179], v31, s[20:23], 0 offen     // 000000003AE8: E05C1000 8005B01F
	buffer_load_dwordx4 v[180:183], v31, s[20:23], 0 offen offset:16// 000000003AF0: E05C1010 8005B41F
	buffer_load_dword v20, v11, s[32:35], 0 offen              // 000000003AF8: E0501000 8008140B
	buffer_load_dword v22, v13, s[32:35], 0 offen              // 000000003B00: E0501000 8008160D
	buffer_load_dwordx4 a[128:131], v33, s[24:27], 0 offen     // 000000003B08: E05C1000 80868021
	buffer_load_dwordx4 a[132:135], v33, s[24:27], 0 offen offset:1024// 000000003B10: E05C1400 80868421
	buffer_load_dwordx4 a[136:139], v34, s[24:27], 0 offen     // 000000003B18: E05C1000 80868822
	buffer_load_dwordx4 a[140:143], v34, s[24:27], 0 offen offset:1024// 000000003B20: E05C1400 80868C22
	s_waitcnt vmcnt(20)                                        // 000000003B28: BF8C4F74
	v_mfma_f32_16x16x128_f8f6f4 v[152:155], a[16:23], v[160:167], 0// 000000003B2C: D3AD0098 0A034110
	v_mfma_f32_16x16x128_f8f6f4 v[156:159], a[24:31], v[160:167], 0// 000000003B34: D3AD009C 0A034118
	buffer_load_dwordx4 a[144:147], v35, s[24:27], 0 offen     // 000000003B3C: E05C1000 80869023
	buffer_load_dwordx4 a[148:151], v35, s[24:27], 0 offen offset:1024// 000000003B44: E05C1400 80869423
	buffer_load_dwordx4 a[152:155], v36, s[24:27], 0 offen     // 000000003B4C: E05C1000 80869824
	buffer_load_dwordx4 a[156:159], v36, s[24:27], 0 offen offset:1024// 000000003B54: E05C1400 80869C24
	v_mul_f32_dpp v46, v19, v15 row_newbcast:0 row_mask:0xf bank_mask:0xf// 000000003B5C: 0A5C1EFA FF015013
	v_mov_b32_e32 v47, v46                                     // 000000003B64: 7E5E032E
	v_pk_fma_f32 v[128:129], v[144:145], v[46:47], v[128:129]  // 000000003B68: D3B04080 1E025D90
	v_pk_fma_f32 v[130:131], v[146:147], v[46:47], v[130:131]  // 000000003B70: D3B04082 1E0A5D92
	v_pk_fma_f32 v[132:133], v[148:149], v[46:47], v[132:133]  // 000000003B78: D3B04084 1E125D94
	v_pk_fma_f32 v[134:135], v[150:151], v[46:47], v[134:135]  // 000000003B80: D3B04086 1E1A5D96
	v_mul_f32_dpp v46, v19, v15 row_newbcast:1 row_mask:0xf bank_mask:0xf// 000000003B88: 0A5C1EFA FF015113
	v_mov_b32_e32 v47, v46                                     // 000000003B90: 7E5E032E
	v_pk_fma_f32 v[136:137], v[152:153], v[46:47], v[136:137]  // 000000003B94: D3B04088 1E225D98
	v_pk_fma_f32 v[138:139], v[154:155], v[46:47], v[138:139]  // 000000003B9C: D3B0408A 1E2A5D9A
	v_pk_fma_f32 v[140:141], v[156:157], v[46:47], v[140:141]  // 000000003BA4: D3B0408C 1E325D9C
	v_pk_fma_f32 v[142:143], v[158:159], v[46:47], v[142:143]  // 000000003BAC: D3B0408E 1E3A5D9E
	s_waitcnt vmcnt(20)                                        // 000000003BB4: BF8C4F74
	v_mfma_f32_16x16x128_f8f6f4 v[144:147], a[32:39], v[168:175], 0// 000000003BB8: D3AD0090 0A035120
	v_mfma_f32_16x16x128_f8f6f4 v[148:151], a[40:47], v[168:175], 0// 000000003BC0: D3AD0094 0A035128
	buffer_load_dwordx4 a[160:163], v33, s[24:27], 0 offen offset:2048// 000000003BC8: E05C1800 8086A021
	buffer_load_dwordx4 a[164:167], v33, s[24:27], 0 offen offset:3072// 000000003BD0: E05C1C00 8086A421
	buffer_load_dwordx4 a[168:171], v34, s[24:27], 0 offen offset:2048// 000000003BD8: E05C1800 8086A822
	buffer_load_dwordx4 a[172:175], v34, s[24:27], 0 offen offset:3072// 000000003BE0: E05C1C00 8086AC22
	s_waitcnt vmcnt(20)                                        // 000000003BE8: BF8C4F74
	v_mfma_f32_16x16x128_f8f6f4 v[152:155], a[48:55], v[168:175], 0// 000000003BEC: D3AD0098 0A035130
	v_mfma_f32_16x16x128_f8f6f4 v[156:159], a[56:63], v[168:175], 0// 000000003BF4: D3AD009C 0A035138
	buffer_load_dwordx4 a[176:179], v35, s[24:27], 0 offen offset:2048// 000000003BFC: E05C1800 8086B023
	buffer_load_dwordx4 a[180:183], v35, s[24:27], 0 offen offset:3072// 000000003C04: E05C1C00 8086B423
	buffer_load_dwordx4 a[184:187], v36, s[24:27], 0 offen offset:2048// 000000003C0C: E05C1800 8086B824
	buffer_load_dwordx4 a[188:191], v36, s[24:27], 0 offen offset:3072// 000000003C14: E05C1C00 8086BC24
	v_mul_f32_dpp v46, v19, v16 row_newbcast:2 row_mask:0xf bank_mask:0xf// 000000003C1C: 0A5C20FA FF015213
	v_mov_b32_e32 v47, v46                                     // 000000003C24: 7E5E032E
	v_pk_fma_f32 v[128:129], v[144:145], v[46:47], v[128:129]  // 000000003C28: D3B04080 1E025D90
	v_pk_fma_f32 v[130:131], v[146:147], v[46:47], v[130:131]  // 000000003C30: D3B04082 1E0A5D92
	v_pk_fma_f32 v[132:133], v[148:149], v[46:47], v[132:133]  // 000000003C38: D3B04084 1E125D94
	v_pk_fma_f32 v[134:135], v[150:151], v[46:47], v[134:135]  // 000000003C40: D3B04086 1E1A5D96
	v_mul_f32_dpp v46, v19, v16 row_newbcast:3 row_mask:0xf bank_mask:0xf// 000000003C48: 0A5C20FA FF015313
	v_mov_b32_e32 v47, v46                                     // 000000003C50: 7E5E032E
	v_pk_fma_f32 v[136:137], v[152:153], v[46:47], v[136:137]  // 000000003C54: D3B04088 1E225D98
	v_pk_fma_f32 v[138:139], v[154:155], v[46:47], v[138:139]  // 000000003C5C: D3B0408A 1E2A5D9A
	v_pk_fma_f32 v[140:141], v[156:157], v[46:47], v[140:141]  // 000000003C64: D3B0408C 1E325D9C
	v_pk_fma_f32 v[142:143], v[158:159], v[46:47], v[142:143]  // 000000003C6C: D3B0408E 1E3A5D9E
	s_add_u32 s60, 0x200, s80                                  // 000000003C74: 803C50FF 00000200
	s_cmp_lt_u32 s60, s81                                      // 000000003C7C: BF0A513C
	s_cselect_b32 s4, s4, 0                                    // 000000003C80: 85048004
	s_add_u32 s32, s4, s32                                     // 000000003C84: 80202004
	s_addc_u32 s33, 0, s33                                     // 000000003C88: 82212180
	s_waitcnt vmcnt(0)                                         // 000000003C8C: BF8C0F70
	s_barrier                                                  // 000000003C90: BF8A0000
	v_mfma_f32_16x16x128_f8f6f4 v[144:147], a[64:71], v[160:167], 0// 000000003C94: D3AD0090 0A034140
	v_mfma_f32_16x16x128_f8f6f4 v[148:151], a[72:79], v[160:167], 0// 000000003C9C: D3AD0094 0A034148
	buffer_load_dwordx4 a[192:195], v33, s[92:95], 0 offen     // 000000003CA4: E05C1000 8097C021
	buffer_load_dwordx4 a[196:199], v33, s[92:95], 0 offen offset:1024// 000000003CAC: E05C1400 8097C421
	buffer_load_dwordx4 a[200:203], v34, s[92:95], 0 offen     // 000000003CB4: E05C1000 8097C822
	buffer_load_dwordx4 a[204:207], v34, s[92:95], 0 offen offset:1024// 000000003CBC: E05C1400 8097CC22
	s_waitcnt vmcnt(4)                                         // 000000003CC4: BF8C0F74
	v_mfma_f32_16x16x128_f8f6f4 v[152:155], a[80:87], v[160:167], 0// 000000003CC8: D3AD0098 0A034150
	v_mfma_f32_16x16x128_f8f6f4 v[156:159], a[88:95], v[160:167], 0// 000000003CD0: D3AD009C 0A034158
	buffer_load_dwordx4 a[208:211], v35, s[92:95], 0 offen     // 000000003CD8: E05C1000 8097D023
	buffer_load_dwordx4 a[212:215], v35, s[92:95], 0 offen offset:1024// 000000003CE0: E05C1400 8097D423
	buffer_load_dwordx4 a[216:219], v36, s[92:95], 0 offen     // 000000003CE8: E05C1000 8097D824
	buffer_load_dwordx4 a[220:223], v36, s[92:95], 0 offen offset:1024// 000000003CF0: E05C1400 8097DC24
	s_waitcnt vmcnt(8)                                         // 000000003CF8: BF8C0F78
	v_mov_b32_e32 v26, 0                                       // 000000003CFC: 7E340280
	v_lshlrev_b32_e32 v46, 16, v176                            // 000000003D00: 245D6090
	v_and_b32_e32 v47, 0xffff0000, v176                        // 000000003D04: 265F60FF FFFF0000
	v_max3_f32 v26, |v47|, |v46|, v26                          // 000000003D0C: D1D3031A 046A5D2F
	v_lshlrev_b32_e32 v46, 16, v177                            // 000000003D14: 245D6290
	v_and_b32_e32 v47, 0xffff0000, v177                        // 000000003D18: 265F62FF FFFF0000
	v_max3_f32 v26, |v47|, |v46|, v26                          // 000000003D20: D1D3031A 046A5D2F
	v_lshlrev_b32_e32 v46, 16, v178                            // 000000003D28: 245D6490
	v_and_b32_e32 v47, 0xffff0000, v178                        // 000000003D2C: 265F64FF FFFF0000
	v_max3_f32 v26, |v47|, |v46|, v26                          // 000000003D34: D1D3031A 046A5D2F
	v_lshlrev_b32_e32 v46, 16, v179                            // 000000003D3C: 245D6690
	v_and_b32_e32 v47, 0xffff0000, v179                        // 000000003D40: 265F66FF FFFF0000
	v_max3_f32 v26, |v47|, |v46|, v26                          // 000000003D48: D1D3031A 046A5D2F
	v_lshlrev_b32_e32 v46, 16, v180                            // 000000003D50: 245D6890
	v_and_b32_e32 v47, 0xffff0000, v180                        // 000000003D54: 265F68FF FFFF0000
	v_max3_f32 v26, |v47|, |v46|, v26                          // 000000003D5C: D1D3031A 046A5D2F
	v_lshlrev_b32_e32 v46, 16, v181                            // 000000003D64: 245D6A90
	v_and_b32_e32 v47, 0xffff0000, v181                        // 000000003D68: 265F6AFF FFFF0000
	v_max3_f32 v26, |v47|, |v46|, v26                          // 000000003D70: D1D3031A 046A5D2F
	v_lshlrev_b32_e32 v46, 16, v182                            // 000000003D78: 245D6C90
	v_and_b32_e32 v47, 0xffff0000, v182                        // 000000003D7C: 265F6CFF FFFF0000
	v_max3_f32 v26, |v47|, |v46|, v26                          // 000000003D84: D1D3031A 046A5D2F
	v_lshlrev_b32_e32 v46, 16, v183                            // 000000003D8C: 245D6E90
	v_and_b32_e32 v47, 0xffff0000, v183                        // 000000003D90: 265F6EFF FFFF0000
	v_max3_f32 v26, |v47|, |v46|, v26                          // 000000003D98: D1D3031A 046A5D2F
	s_barrier                                                  // 000000003DA0: BF8A0000
	v_max_f32_dpp v27, v26, v26 quad_perm:[1,2,3,0] row_mask:0xf bank_mask:0xf// 000000003DA4: 163634FA FF00391A
	s_nop 1                                                    // 000000003DAC: BF800001
	v_max_f32_dpp v46, v27, v27 quad_perm:[2,3,0,1] row_mask:0xf bank_mask:0xf// 000000003DB0: 165C36FA FF004E1B
	s_nop 1                                                    // 000000003DB8: BF800001
	v_max_f32_dpp v26, v46, v46 row_half_mirror row_mask:0xf bank_mask:0xf// 000000003DBC: 16345CFA FF01412E
	v_rcp_f32_e32 v46, v26                                     // 000000003DC4: 7E5C451A
	v_mov_b32_e32 v47, 0x43e00000                              // 000000003DC8: 7E5E02FF 43E00000
	v_mul_f32_e32 v27, v47, v46                                // 000000003DD0: 0A365D2F
	v_mov_b32_e32 v26, v27                                     // 000000003DD4: 7E34031B
	v_lshlrev_b32_e32 v46, 16, v176                            // 000000003DD8: 245D6090
	v_and_b32_e32 v47, 0xffff0000, v176                        // 000000003DDC: 265F60FF FFFF0000
	v_pk_mul_f32 v[46:47], v[46:47], v[26:27]                  // 000000003DE4: D3B1402E 1802352E
	v_cvt_pk_fp8_f32 v176, v46, v47                            // 000000003DEC: D2A200B0 00025F2E
	v_lshlrev_b32_e32 v46, 16, v177                            // 000000003DF4: 245D6290
	v_and_b32_e32 v47, 0xffff0000, v177                        // 000000003DF8: 265F62FF FFFF0000
	v_pk_mul_f32 v[46:47], v[46:47], v[26:27]                  // 000000003E00: D3B1402E 1802352E
	v_cvt_pk_fp8_f32 v176, v46, v47 op_sel:[0,0,1]             // 000000003E08: D2A240B0 00025F2E
	v_lshlrev_b32_e32 v46, 16, v178                            // 000000003E10: 245D6490
	v_and_b32_e32 v47, 0xffff0000, v178                        // 000000003E14: 265F64FF FFFF0000
	v_pk_mul_f32 v[46:47], v[46:47], v[26:27]                  // 000000003E1C: D3B1402E 1802352E
	v_cvt_pk_fp8_f32 v177, v46, v47                            // 000000003E24: D2A200B1 00025F2E
	v_lshlrev_b32_e32 v46, 16, v179                            // 000000003E2C: 245D6690
	v_and_b32_e32 v47, 0xffff0000, v179                        // 000000003E30: 265F66FF FFFF0000
	v_pk_mul_f32 v[46:47], v[46:47], v[26:27]                  // 000000003E38: D3B1402E 1802352E
	v_cvt_pk_fp8_f32 v177, v46, v47 op_sel:[0,0,1]             // 000000003E40: D2A240B1 00025F2E
	v_lshlrev_b32_e32 v46, 16, v180                            // 000000003E48: 245D6890
	v_and_b32_e32 v47, 0xffff0000, v180                        // 000000003E4C: 265F68FF FFFF0000
	v_pk_mul_f32 v[46:47], v[46:47], v[26:27]                  // 000000003E54: D3B1402E 1802352E
	v_cvt_pk_fp8_f32 v178, v46, v47                            // 000000003E5C: D2A200B2 00025F2E
	v_lshlrev_b32_e32 v46, 16, v181                            // 000000003E64: 245D6A90
	v_and_b32_e32 v47, 0xffff0000, v181                        // 000000003E68: 265F6AFF FFFF0000
	v_pk_mul_f32 v[46:47], v[46:47], v[26:27]                  // 000000003E70: D3B1402E 1802352E
	v_cvt_pk_fp8_f32 v178, v46, v47 op_sel:[0,0,1]             // 000000003E78: D2A240B2 00025F2E
	v_lshlrev_b32_e32 v46, 16, v182                            // 000000003E80: 245D6C90
	v_and_b32_e32 v47, 0xffff0000, v182                        // 000000003E84: 265F6CFF FFFF0000
	v_pk_mul_f32 v[46:47], v[46:47], v[26:27]                  // 000000003E8C: D3B1402E 1802352E
	v_cvt_pk_fp8_f32 v179, v46, v47                            // 000000003E94: D2A200B3 00025F2E
	v_lshlrev_b32_e32 v46, 16, v183                            // 000000003E9C: 245D6E90
	v_and_b32_e32 v47, 0xffff0000, v183                        // 000000003EA0: 265F6EFF FFFF0000
	v_pk_mul_f32 v[46:47], v[46:47], v[26:27]                  // 000000003EA8: D3B1402E 1802352E
	v_cvt_pk_fp8_f32 v179, v46, v47 op_sel:[0,0,1]             // 000000003EB0: D2A240B3 00025F2E
	v_lshlrev_b32_e32 v46, 4, v0                               // 000000003EB8: 245C0084
	v_add_u32_e64 v46, v46, s51                                // 000000003EBC: D134002E 0000672E
	ds_write_b128 v46, v[176:179]                              // 000000003EC4: D9BE0000 0000B02E
	v_rcp_f32_e32 v28, v27                                     // 000000003ECC: 7E38451B
	v_add_u32_e32 v46, 0, v30                                  // 000000003ED0: 685C3C80
	s_mov_b64 s[60:61], exec                                   // 000000003ED4: BEBC017E
	s_mov_b32 s62, 0xf0f0f0f                                   // 000000003ED8: BEBE00FF 0F0F0F0F
	s_mov_b32 s63, 0xf0f0f0f                                   // 000000003EE0: BEBF00FF 0F0F0F0F
	s_mov_b64 exec, s[62:63]                                   // 000000003EE8: BEFE013E
	ds_write_b32 v46, v28 offset:9728                          // 000000003EEC: D81A2600 00001C2E
	s_mov_b64 exec, s[60:61]                                   // 000000003EF4: BEFE013C
	v_mul_f32_dpp v46, v21, v15 row_newbcast:0 row_mask:0xf bank_mask:0xf// 000000003EF8: 0A5C1EFA FF015015
	v_mov_b32_e32 v47, v46                                     // 000000003F00: 7E5E032E
	v_pk_fma_f32 v[64:65], v[144:145], v[46:47], v[64:65]      // 000000003F04: D3B04040 1D025D90
	v_pk_fma_f32 v[66:67], v[146:147], v[46:47], v[66:67]      // 000000003F0C: D3B04042 1D0A5D92
	v_pk_fma_f32 v[68:69], v[148:149], v[46:47], v[68:69]      // 000000003F14: D3B04044 1D125D94
	v_pk_fma_f32 v[70:71], v[150:151], v[46:47], v[70:71]      // 000000003F1C: D3B04046 1D1A5D96
	v_mul_f32_dpp v46, v21, v15 row_newbcast:1 row_mask:0xf bank_mask:0xf// 000000003F24: 0A5C1EFA FF015115
	v_mov_b32_e32 v47, v46                                     // 000000003F2C: 7E5E032E
	v_pk_fma_f32 v[72:73], v[152:153], v[46:47], v[72:73]      // 000000003F30: D3B04048 1D225D98
	v_pk_fma_f32 v[74:75], v[154:155], v[46:47], v[74:75]      // 000000003F38: D3B0404A 1D2A5D9A
	v_pk_fma_f32 v[76:77], v[156:157], v[46:47], v[76:77]      // 000000003F40: D3B0404C 1D325D9C
	v_pk_fma_f32 v[78:79], v[158:159], v[46:47], v[78:79]      // 000000003F48: D3B0404E 1D3A5D9E
	s_waitcnt vmcnt(4)                                         // 000000003F50: BF8C0F74
	v_mfma_f32_16x16x128_f8f6f4 v[144:147], a[96:103], v[168:175], 0// 000000003F54: D3AD0090 0A035160
	s_waitcnt lgkmcnt(0)                                       // 000000003F5C: BF8CC07F
	s_barrier                                                  // 000000003F60: BF8A0000
	ds_read_b128 v[176:179], v2 offset:5376                    // 000000003F64: D9FE1500 B0000002
	ds_read_b128 v[180:183], v2 offset:5440                    // 000000003F6C: D9FE1540 B4000002
	ds_read_b32 v17, v3 offset:9728                            // 000000003F74: D86C2600 11000003
	v_mfma_f32_16x16x128_f8f6f4 v[148:151], a[104:111], v[168:175], 0// 000000003F7C: D3AD0094 0A035168
	buffer_load_dwordx4 a[224:227], v33, s[92:95], 0 offen offset:2048// 000000003F84: E05C1800 8097E021
	buffer_load_dwordx4 a[228:231], v33, s[92:95], 0 offen offset:3072// 000000003F8C: E05C1C00 8097E421
	buffer_load_dwordx4 a[232:235], v34, s[92:95], 0 offen offset:2048// 000000003F94: E05C1800 8097E822
	buffer_load_dwordx4 a[236:239], v34, s[92:95], 0 offen offset:3072// 000000003F9C: E05C1C00 8097EC22
	s_waitcnt vmcnt(4)                                         // 000000003FA4: BF8C0F74
	v_mfma_f32_16x16x128_f8f6f4 v[152:155], a[112:119], v[168:175], 0// 000000003FA8: D3AD0098 0A035170
	ds_read_b128 v[184:187], v2 offset:5888                    // 000000003FB0: D9FE1700 B8000002
	ds_read_b128 v[188:191], v2 offset:5952                    // 000000003FB8: D9FE1740 BC000002
	ds_read_b32 v18, v3 offset:9984                            // 000000003FC0: D86C2700 12000003
	v_mfma_f32_16x16x128_f8f6f4 v[156:159], a[120:127], v[168:175], 0// 000000003FC8: D3AD009C 0A035178
	buffer_load_dwordx4 a[240:243], v35, s[92:95], 0 offen offset:2048// 000000003FD0: E05C1800 8097F023
	buffer_load_dwordx4 a[244:247], v35, s[92:95], 0 offen offset:3072// 000000003FD8: E05C1C00 8097F423
	buffer_load_dwordx4 a[248:251], v36, s[92:95], 0 offen offset:2048// 000000003FE0: E05C1800 8097F824
	buffer_load_dwordx4 a[252:255], v36, s[92:95], 0 offen offset:3072// 000000003FE8: E05C1C00 8097FC24
	v_mul_f32_dpp v46, v21, v16 row_newbcast:2 row_mask:0xf bank_mask:0xf// 000000003FF0: 0A5C20FA FF015215
	v_mov_b32_e32 v47, v46                                     // 000000003FF8: 7E5E032E
	v_pk_fma_f32 v[64:65], v[144:145], v[46:47], v[64:65]      // 000000003FFC: D3B04040 1D025D90
	v_pk_fma_f32 v[66:67], v[146:147], v[46:47], v[66:67]      // 000000004004: D3B04042 1D0A5D92
	v_pk_fma_f32 v[68:69], v[148:149], v[46:47], v[68:69]      // 00000000400C: D3B04044 1D125D94
	v_pk_fma_f32 v[70:71], v[150:151], v[46:47], v[70:71]      // 000000004014: D3B04046 1D1A5D96
	v_mul_f32_dpp v46, v21, v16 row_newbcast:3 row_mask:0xf bank_mask:0xf// 00000000401C: 0A5C20FA FF015315
	v_mov_b32_e32 v47, v46                                     // 000000004024: 7E5E032E
	v_pk_fma_f32 v[72:73], v[152:153], v[46:47], v[72:73]      // 000000004028: D3B04048 1D225D98
	v_pk_fma_f32 v[74:75], v[154:155], v[46:47], v[74:75]      // 000000004030: D3B0404A 1D2A5D9A
	v_pk_fma_f32 v[76:77], v[156:157], v[46:47], v[76:77]      // 000000004038: D3B0404C 1D325D9C
	v_pk_fma_f32 v[78:79], v[158:159], v[46:47], v[78:79]      // 000000004040: D3B0404E 1D3A5D9E
	s_add_u32 s60, 0x200, s80                                  // 000000004048: 803C50FF 00000200
	s_cmp_lt_u32 s60, s81                                      // 000000004050: BF0A513C
	s_cselect_b32 s57, s57, 0                                  // 000000004054: 85398039
	s_add_u32 s60, 0x200, s80                                  // 000000004058: 803C50FF 00000200
	s_cmp_lt_u32 s60, s81                                      // 000000004060: BF0A513C
	s_cselect_b32 s58, s58, 0                                  // 000000004064: 853A803A
	s_cselect_b32 s90, s90, 0                                  // 000000004068: 855A805A
	s_add_u32 s20, s57, s20                                    // 00000000406C: 80141439
	s_addc_u32 s21, 0, s21                                     // 000000004070: 82151580
	s_add_u32 s24, s58, s24                                    // 000000004074: 8018183A
	s_addc_u32 s25, 0, s25                                     // 000000004078: 82191980
	s_add_u32 s92, s90, s92                                    // 00000000407C: 805C5C5A
	s_addc_u32 s93, 0, s93                                     // 000000004080: 825D5D80
	s_addk_i32 s80, 0x100                                      // 000000004084: B7500100
	s_cmp_lt_i32 s80, s81                                      // 000000004088: BF045150
	s_cbranch_scc0 label_0615                                  // 00000000408C: BF840171
	s_waitcnt vmcnt(28) lgkmcnt(0)                             // 000000004090: BF8C407C
	s_barrier                                                  // 000000004094: BF8A0000
	v_mfma_f32_16x16x128_f8f6f4 v[144:147], a[128:135], v[176:183], 0// 000000004098: D3AD0090 0A036180
	v_mfma_f32_16x16x128_f8f6f4 v[148:151], a[136:143], v[176:183], 0// 0000000040A0: D3AD0094 0A036188
	buffer_load_dwordx4 v[160:163], v31, s[20:23], 0 offen     // 0000000040A8: E05C1000 8005A01F
	buffer_load_dwordx4 v[164:167], v31, s[20:23], 0 offen offset:16// 0000000040B0: E05C1010 8005A41F
	buffer_load_dword v19, v11, s[32:35], 0 offen              // 0000000040B8: E0501000 8008130B
	buffer_load_dword v21, v13, s[32:35], 0 offen              // 0000000040C0: E0501000 8008150D
	buffer_load_dwordx4 a[0:3], v33, s[24:27], 0 offen         // 0000000040C8: E05C1000 80860021
	buffer_load_dwordx4 a[4:7], v33, s[24:27], 0 offen offset:1024// 0000000040D0: E05C1400 80860421
	buffer_load_dwordx4 a[8:11], v34, s[24:27], 0 offen        // 0000000040D8: E05C1000 80860822
	buffer_load_dwordx4 a[12:15], v34, s[24:27], 0 offen offset:1024// 0000000040E0: E05C1400 80860C22
	s_waitcnt vmcnt(20)                                        // 0000000040E8: BF8C4F74
	v_mfma_f32_16x16x128_f8f6f4 v[152:155], a[144:151], v[176:183], 0// 0000000040EC: D3AD0098 0A036190
	v_mfma_f32_16x16x128_f8f6f4 v[156:159], a[152:159], v[176:183], 0// 0000000040F4: D3AD009C 0A036198
	buffer_load_dwordx4 a[16:19], v35, s[24:27], 0 offen       // 0000000040FC: E05C1000 80861023
	buffer_load_dwordx4 a[20:23], v35, s[24:27], 0 offen offset:1024// 000000004104: E05C1400 80861423
	buffer_load_dwordx4 a[24:27], v36, s[24:27], 0 offen       // 00000000410C: E05C1000 80861824
	buffer_load_dwordx4 a[28:31], v36, s[24:27], 0 offen offset:1024// 000000004114: E05C1400 80861C24
	v_mul_f32_dpp v46, v20, v17 row_newbcast:0 row_mask:0xf bank_mask:0xf// 00000000411C: 0A5C22FA FF015014
	v_mov_b32_e32 v47, v46                                     // 000000004124: 7E5E032E
	v_pk_fma_f32 v[128:129], v[144:145], v[46:47], v[128:129]  // 000000004128: D3B04080 1E025D90
	v_pk_fma_f32 v[130:131], v[146:147], v[46:47], v[130:131]  // 000000004130: D3B04082 1E0A5D92
	v_pk_fma_f32 v[132:133], v[148:149], v[46:47], v[132:133]  // 000000004138: D3B04084 1E125D94
	v_pk_fma_f32 v[134:135], v[150:151], v[46:47], v[134:135]  // 000000004140: D3B04086 1E1A5D96
	v_mul_f32_dpp v46, v20, v17 row_newbcast:1 row_mask:0xf bank_mask:0xf// 000000004148: 0A5C22FA FF015114
	v_mov_b32_e32 v47, v46                                     // 000000004150: 7E5E032E
	v_pk_fma_f32 v[136:137], v[152:153], v[46:47], v[136:137]  // 000000004154: D3B04088 1E225D98
	v_pk_fma_f32 v[138:139], v[154:155], v[46:47], v[138:139]  // 00000000415C: D3B0408A 1E2A5D9A
	v_pk_fma_f32 v[140:141], v[156:157], v[46:47], v[140:141]  // 000000004164: D3B0408C 1E325D9C
	v_pk_fma_f32 v[142:143], v[158:159], v[46:47], v[142:143]  // 00000000416C: D3B0408E 1E3A5D9E
	s_waitcnt vmcnt(20)                                        // 000000004174: BF8C4F74
	v_mfma_f32_16x16x128_f8f6f4 v[144:147], a[160:167], v[184:191], 0// 000000004178: D3AD0090 0A0371A0
	v_mfma_f32_16x16x128_f8f6f4 v[148:151], a[168:175], v[184:191], 0// 000000004180: D3AD0094 0A0371A8
	buffer_load_dwordx4 a[32:35], v33, s[24:27], 0 offen offset:2048// 000000004188: E05C1800 80862021
	buffer_load_dwordx4 a[36:39], v33, s[24:27], 0 offen offset:3072// 000000004190: E05C1C00 80862421
	buffer_load_dwordx4 a[40:43], v34, s[24:27], 0 offen offset:2048// 000000004198: E05C1800 80862822
	buffer_load_dwordx4 a[44:47], v34, s[24:27], 0 offen offset:3072// 0000000041A0: E05C1C00 80862C22
	s_waitcnt vmcnt(20)                                        // 0000000041A8: BF8C4F74
	v_mfma_f32_16x16x128_f8f6f4 v[152:155], a[176:183], v[184:191], 0// 0000000041AC: D3AD0098 0A0371B0
	v_mfma_f32_16x16x128_f8f6f4 v[156:159], a[184:191], v[184:191], 0// 0000000041B4: D3AD009C 0A0371B8
	buffer_load_dwordx4 a[48:51], v35, s[24:27], 0 offen offset:2048// 0000000041BC: E05C1800 80863023
	buffer_load_dwordx4 a[52:55], v35, s[24:27], 0 offen offset:3072// 0000000041C4: E05C1C00 80863423
	buffer_load_dwordx4 a[56:59], v36, s[24:27], 0 offen offset:2048// 0000000041CC: E05C1800 80863824
	buffer_load_dwordx4 a[60:63], v36, s[24:27], 0 offen offset:3072// 0000000041D4: E05C1C00 80863C24
	v_mul_f32_dpp v46, v20, v18 row_newbcast:2 row_mask:0xf bank_mask:0xf// 0000000041DC: 0A5C24FA FF015214
	v_mov_b32_e32 v47, v46                                     // 0000000041E4: 7E5E032E
	v_pk_fma_f32 v[128:129], v[144:145], v[46:47], v[128:129]  // 0000000041E8: D3B04080 1E025D90
	v_pk_fma_f32 v[130:131], v[146:147], v[46:47], v[130:131]  // 0000000041F0: D3B04082 1E0A5D92
	v_pk_fma_f32 v[132:133], v[148:149], v[46:47], v[132:133]  // 0000000041F8: D3B04084 1E125D94
	v_pk_fma_f32 v[134:135], v[150:151], v[46:47], v[134:135]  // 000000004200: D3B04086 1E1A5D96
	v_mul_f32_dpp v46, v20, v18 row_newbcast:3 row_mask:0xf bank_mask:0xf// 000000004208: 0A5C24FA FF015314
	v_mov_b32_e32 v47, v46                                     // 000000004210: 7E5E032E
	v_pk_fma_f32 v[136:137], v[152:153], v[46:47], v[136:137]  // 000000004214: D3B04088 1E225D98
	v_pk_fma_f32 v[138:139], v[154:155], v[46:47], v[138:139]  // 00000000421C: D3B0408A 1E2A5D9A
	v_pk_fma_f32 v[140:141], v[156:157], v[46:47], v[140:141]  // 000000004224: D3B0408C 1E325D9C
	v_pk_fma_f32 v[142:143], v[158:159], v[46:47], v[142:143]  // 00000000422C: D3B0408E 1E3A5D9E
	s_add_u32 s60, 0x200, s80                                  // 000000004234: 803C50FF 00000200
	s_cmp_lt_u32 s60, s81                                      // 00000000423C: BF0A513C
	s_cselect_b32 s4, s4, 0                                    // 000000004240: 85048004
	s_add_u32 s32, s4, s32                                     // 000000004244: 80202004
	s_addc_u32 s33, 0, s33                                     // 000000004248: 82212180
	s_waitcnt vmcnt(0)                                         // 00000000424C: BF8C0F70
	s_barrier                                                  // 000000004250: BF8A0000
	v_mfma_f32_16x16x128_f8f6f4 v[144:147], a[192:199], v[176:183], 0// 000000004254: D3AD0090 0A0361C0
	v_mfma_f32_16x16x128_f8f6f4 v[148:151], a[200:207], v[176:183], 0// 00000000425C: D3AD0094 0A0361C8
	buffer_load_dwordx4 a[64:67], v33, s[92:95], 0 offen       // 000000004264: E05C1000 80974021
	buffer_load_dwordx4 a[68:71], v33, s[92:95], 0 offen offset:1024// 00000000426C: E05C1400 80974421
	buffer_load_dwordx4 a[72:75], v34, s[92:95], 0 offen       // 000000004274: E05C1000 80974822
	buffer_load_dwordx4 a[76:79], v34, s[92:95], 0 offen offset:1024// 00000000427C: E05C1400 80974C22
	s_waitcnt vmcnt(4)                                         // 000000004284: BF8C0F74
	v_mfma_f32_16x16x128_f8f6f4 v[152:155], a[208:215], v[176:183], 0// 000000004288: D3AD0098 0A0361D0
	v_mfma_f32_16x16x128_f8f6f4 v[156:159], a[216:223], v[176:183], 0// 000000004290: D3AD009C 0A0361D8
	buffer_load_dwordx4 a[80:83], v35, s[92:95], 0 offen       // 000000004298: E05C1000 80975023
	buffer_load_dwordx4 a[84:87], v35, s[92:95], 0 offen offset:1024// 0000000042A0: E05C1400 80975423
	buffer_load_dwordx4 a[88:91], v36, s[92:95], 0 offen       // 0000000042A8: E05C1000 80975824
	buffer_load_dwordx4 a[92:95], v36, s[92:95], 0 offen offset:1024// 0000000042B0: E05C1400 80975C24
	s_waitcnt vmcnt(8)                                         // 0000000042B8: BF8C0F78
	v_mov_b32_e32 v26, 0                                       // 0000000042BC: 7E340280
	v_lshlrev_b32_e32 v46, 16, v160                            // 0000000042C0: 245D4090
	v_and_b32_e32 v47, 0xffff0000, v160                        // 0000000042C4: 265F40FF FFFF0000
	v_max3_f32 v26, |v47|, |v46|, v26                          // 0000000042CC: D1D3031A 046A5D2F
	v_lshlrev_b32_e32 v46, 16, v161                            // 0000000042D4: 245D4290
	v_and_b32_e32 v47, 0xffff0000, v161                        // 0000000042D8: 265F42FF FFFF0000
	v_max3_f32 v26, |v47|, |v46|, v26                          // 0000000042E0: D1D3031A 046A5D2F
	v_lshlrev_b32_e32 v46, 16, v162                            // 0000000042E8: 245D4490
	v_and_b32_e32 v47, 0xffff0000, v162                        // 0000000042EC: 265F44FF FFFF0000
	v_max3_f32 v26, |v47|, |v46|, v26                          // 0000000042F4: D1D3031A 046A5D2F
	v_lshlrev_b32_e32 v46, 16, v163                            // 0000000042FC: 245D4690
	v_and_b32_e32 v47, 0xffff0000, v163                        // 000000004300: 265F46FF FFFF0000
	v_max3_f32 v26, |v47|, |v46|, v26                          // 000000004308: D1D3031A 046A5D2F
	v_lshlrev_b32_e32 v46, 16, v164                            // 000000004310: 245D4890
	v_and_b32_e32 v47, 0xffff0000, v164                        // 000000004314: 265F48FF FFFF0000
	v_max3_f32 v26, |v47|, |v46|, v26                          // 00000000431C: D1D3031A 046A5D2F
	v_lshlrev_b32_e32 v46, 16, v165                            // 000000004324: 245D4A90
	v_and_b32_e32 v47, 0xffff0000, v165                        // 000000004328: 265F4AFF FFFF0000
	v_max3_f32 v26, |v47|, |v46|, v26                          // 000000004330: D1D3031A 046A5D2F
	v_lshlrev_b32_e32 v46, 16, v166                            // 000000004338: 245D4C90
	v_and_b32_e32 v47, 0xffff0000, v166                        // 00000000433C: 265F4CFF FFFF0000
	v_max3_f32 v26, |v47|, |v46|, v26                          // 000000004344: D1D3031A 046A5D2F
	v_lshlrev_b32_e32 v46, 16, v167                            // 00000000434C: 245D4E90
	v_and_b32_e32 v47, 0xffff0000, v167                        // 000000004350: 265F4EFF FFFF0000
	v_max3_f32 v26, |v47|, |v46|, v26                          // 000000004358: D1D3031A 046A5D2F
	s_barrier                                                  // 000000004360: BF8A0000
	v_max_f32_dpp v27, v26, v26 quad_perm:[1,2,3,0] row_mask:0xf bank_mask:0xf// 000000004364: 163634FA FF00391A
	s_nop 1                                                    // 00000000436C: BF800001
	v_max_f32_dpp v46, v27, v27 quad_perm:[2,3,0,1] row_mask:0xf bank_mask:0xf// 000000004370: 165C36FA FF004E1B
	s_nop 1                                                    // 000000004378: BF800001
	v_max_f32_dpp v26, v46, v46 row_half_mirror row_mask:0xf bank_mask:0xf// 00000000437C: 16345CFA FF01412E
	v_rcp_f32_e32 v46, v26                                     // 000000004384: 7E5C451A
	v_mov_b32_e32 v47, 0x43e00000                              // 000000004388: 7E5E02FF 43E00000
	v_mul_f32_e32 v27, v47, v46                                // 000000004390: 0A365D2F
	v_mov_b32_e32 v26, v27                                     // 000000004394: 7E34031B
	v_lshlrev_b32_e32 v46, 16, v160                            // 000000004398: 245D4090
	v_and_b32_e32 v47, 0xffff0000, v160                        // 00000000439C: 265F40FF FFFF0000
	v_pk_mul_f32 v[46:47], v[46:47], v[26:27]                  // 0000000043A4: D3B1402E 1802352E
	v_cvt_pk_fp8_f32 v160, v46, v47                            // 0000000043AC: D2A200A0 00025F2E
	v_lshlrev_b32_e32 v46, 16, v161                            // 0000000043B4: 245D4290
	v_and_b32_e32 v47, 0xffff0000, v161                        // 0000000043B8: 265F42FF FFFF0000
	v_pk_mul_f32 v[46:47], v[46:47], v[26:27]                  // 0000000043C0: D3B1402E 1802352E
	v_cvt_pk_fp8_f32 v160, v46, v47 op_sel:[0,0,1]             // 0000000043C8: D2A240A0 00025F2E
	v_lshlrev_b32_e32 v46, 16, v162                            // 0000000043D0: 245D4490
	v_and_b32_e32 v47, 0xffff0000, v162                        // 0000000043D4: 265F44FF FFFF0000
	v_pk_mul_f32 v[46:47], v[46:47], v[26:27]                  // 0000000043DC: D3B1402E 1802352E
	v_cvt_pk_fp8_f32 v161, v46, v47                            // 0000000043E4: D2A200A1 00025F2E
	v_lshlrev_b32_e32 v46, 16, v163                            // 0000000043EC: 245D4690
	v_and_b32_e32 v47, 0xffff0000, v163                        // 0000000043F0: 265F46FF FFFF0000
	v_pk_mul_f32 v[46:47], v[46:47], v[26:27]                  // 0000000043F8: D3B1402E 1802352E
	v_cvt_pk_fp8_f32 v161, v46, v47 op_sel:[0,0,1]             // 000000004400: D2A240A1 00025F2E
	v_lshlrev_b32_e32 v46, 16, v164                            // 000000004408: 245D4890
	v_and_b32_e32 v47, 0xffff0000, v164                        // 00000000440C: 265F48FF FFFF0000
	v_pk_mul_f32 v[46:47], v[46:47], v[26:27]                  // 000000004414: D3B1402E 1802352E
	v_cvt_pk_fp8_f32 v162, v46, v47                            // 00000000441C: D2A200A2 00025F2E
	v_lshlrev_b32_e32 v46, 16, v165                            // 000000004424: 245D4A90
	v_and_b32_e32 v47, 0xffff0000, v165                        // 000000004428: 265F4AFF FFFF0000
	v_pk_mul_f32 v[46:47], v[46:47], v[26:27]                  // 000000004430: D3B1402E 1802352E
	v_cvt_pk_fp8_f32 v162, v46, v47 op_sel:[0,0,1]             // 000000004438: D2A240A2 00025F2E
	v_lshlrev_b32_e32 v46, 16, v166                            // 000000004440: 245D4C90
	v_and_b32_e32 v47, 0xffff0000, v166                        // 000000004444: 265F4CFF FFFF0000
	v_pk_mul_f32 v[46:47], v[46:47], v[26:27]                  // 00000000444C: D3B1402E 1802352E
	v_cvt_pk_fp8_f32 v163, v46, v47                            // 000000004454: D2A200A3 00025F2E
	v_lshlrev_b32_e32 v46, 16, v167                            // 00000000445C: 245D4E90
	v_and_b32_e32 v47, 0xffff0000, v167                        // 000000004460: 265F4EFF FFFF0000
	v_pk_mul_f32 v[46:47], v[46:47], v[26:27]                  // 000000004468: D3B1402E 1802352E
	v_cvt_pk_fp8_f32 v163, v46, v47 op_sel:[0,0,1]             // 000000004470: D2A240A3 00025F2E
	v_lshlrev_b32_e32 v46, 4, v0                               // 000000004478: 245C0084
	v_add_u32_e64 v46, v46, s50                                // 00000000447C: D134002E 0000652E
	ds_write_b128 v46, v[160:163]                              // 000000004484: D9BE0000 0000A02E
	v_rcp_f32_e32 v28, v27                                     // 00000000448C: 7E38451B
	v_add_u32_e32 v46, 0, v30                                  // 000000004490: 685C3C80
	s_mov_b64 s[60:61], exec                                   // 000000004494: BEBC017E
	s_mov_b32 s62, 0xf0f0f0f                                   // 000000004498: BEBE00FF 0F0F0F0F
	s_mov_b32 s63, 0xf0f0f0f                                   // 0000000044A0: BEBF00FF 0F0F0F0F
	s_mov_b64 exec, s[62:63]                                   // 0000000044A8: BEFE013E
	ds_write_b32 v46, v28 offset:4352                          // 0000000044AC: D81A1100 00001C2E
	s_mov_b64 exec, s[60:61]                                   // 0000000044B4: BEFE013C
	v_mul_f32_dpp v46, v22, v17 row_newbcast:0 row_mask:0xf bank_mask:0xf// 0000000044B8: 0A5C22FA FF015016
	v_mov_b32_e32 v47, v46                                     // 0000000044C0: 7E5E032E
	v_pk_fma_f32 v[64:65], v[144:145], v[46:47], v[64:65]      // 0000000044C4: D3B04040 1D025D90
	v_pk_fma_f32 v[66:67], v[146:147], v[46:47], v[66:67]      // 0000000044CC: D3B04042 1D0A5D92
	v_pk_fma_f32 v[68:69], v[148:149], v[46:47], v[68:69]      // 0000000044D4: D3B04044 1D125D94
	v_pk_fma_f32 v[70:71], v[150:151], v[46:47], v[70:71]      // 0000000044DC: D3B04046 1D1A5D96
	v_mul_f32_dpp v46, v22, v17 row_newbcast:1 row_mask:0xf bank_mask:0xf// 0000000044E4: 0A5C22FA FF015116
	v_mov_b32_e32 v47, v46                                     // 0000000044EC: 7E5E032E
	v_pk_fma_f32 v[72:73], v[152:153], v[46:47], v[72:73]      // 0000000044F0: D3B04048 1D225D98
	v_pk_fma_f32 v[74:75], v[154:155], v[46:47], v[74:75]      // 0000000044F8: D3B0404A 1D2A5D9A
	v_pk_fma_f32 v[76:77], v[156:157], v[46:47], v[76:77]      // 000000004500: D3B0404C 1D325D9C
	v_pk_fma_f32 v[78:79], v[158:159], v[46:47], v[78:79]      // 000000004508: D3B0404E 1D3A5D9E
	s_waitcnt vmcnt(4)                                         // 000000004510: BF8C0F74
	v_mfma_f32_16x16x128_f8f6f4 v[144:147], a[224:231], v[184:191], 0// 000000004514: D3AD0090 0A0371E0
	s_waitcnt lgkmcnt(0)                                       // 00000000451C: BF8CC07F
	s_barrier                                                  // 000000004520: BF8A0000
	ds_read_b128 v[160:163], v2                                // 000000004524: D9FE0000 A0000002
	ds_read_b128 v[164:167], v2 offset:64                      // 00000000452C: D9FE0040 A4000002
	ds_read_b32 v15, v3 offset:4352                            // 000000004534: D86C1100 0F000003
	v_mfma_f32_16x16x128_f8f6f4 v[148:151], a[232:239], v[184:191], 0// 00000000453C: D3AD0094 0A0371E8
	buffer_load_dwordx4 a[96:99], v33, s[92:95], 0 offen offset:2048// 000000004544: E05C1800 80976021
	buffer_load_dwordx4 a[100:103], v33, s[92:95], 0 offen offset:3072// 00000000454C: E05C1C00 80976421
	buffer_load_dwordx4 a[104:107], v34, s[92:95], 0 offen offset:2048// 000000004554: E05C1800 80976822
	buffer_load_dwordx4 a[108:111], v34, s[92:95], 0 offen offset:3072// 00000000455C: E05C1C00 80976C22
	s_waitcnt vmcnt(4)                                         // 000000004564: BF8C0F74
	v_mfma_f32_16x16x128_f8f6f4 v[152:155], a[240:247], v[184:191], 0// 000000004568: D3AD0098 0A0371F0
	ds_read_b128 v[168:171], v2 offset:512                     // 000000004570: D9FE0200 A8000002
	ds_read_b128 v[172:175], v2 offset:576                     // 000000004578: D9FE0240 AC000002
	ds_read_b32 v16, v3 offset:4608                            // 000000004580: D86C1200 10000003
	v_mfma_f32_16x16x128_f8f6f4 v[156:159], a[248:255], v[184:191], 0// 000000004588: D3AD009C 0A0371F8
	buffer_load_dwordx4 a[112:115], v35, s[92:95], 0 offen offset:2048// 000000004590: E05C1800 80977023
	buffer_load_dwordx4 a[116:119], v35, s[92:95], 0 offen offset:3072// 000000004598: E05C1C00 80977423
	buffer_load_dwordx4 a[120:123], v36, s[92:95], 0 offen offset:2048// 0000000045A0: E05C1800 80977824
	buffer_load_dwordx4 a[124:127], v36, s[92:95], 0 offen offset:3072// 0000000045A8: E05C1C00 80977C24
	v_mul_f32_dpp v46, v22, v18 row_newbcast:2 row_mask:0xf bank_mask:0xf// 0000000045B0: 0A5C24FA FF015216
	v_mov_b32_e32 v47, v46                                     // 0000000045B8: 7E5E032E
	v_pk_fma_f32 v[64:65], v[144:145], v[46:47], v[64:65]      // 0000000045BC: D3B04040 1D025D90
	v_pk_fma_f32 v[66:67], v[146:147], v[46:47], v[66:67]      // 0000000045C4: D3B04042 1D0A5D92
	v_pk_fma_f32 v[68:69], v[148:149], v[46:47], v[68:69]      // 0000000045CC: D3B04044 1D125D94
	v_pk_fma_f32 v[70:71], v[150:151], v[46:47], v[70:71]      // 0000000045D4: D3B04046 1D1A5D96
	v_mul_f32_dpp v46, v22, v18 row_newbcast:3 row_mask:0xf bank_mask:0xf// 0000000045DC: 0A5C24FA FF015316
	v_mov_b32_e32 v47, v46                                     // 0000000045E4: 7E5E032E
	v_pk_fma_f32 v[72:73], v[152:153], v[46:47], v[72:73]      // 0000000045E8: D3B04048 1D225D98
	v_pk_fma_f32 v[74:75], v[154:155], v[46:47], v[74:75]      // 0000000045F0: D3B0404A 1D2A5D9A
	v_pk_fma_f32 v[76:77], v[156:157], v[46:47], v[76:77]      // 0000000045F8: D3B0404C 1D325D9C
	v_pk_fma_f32 v[78:79], v[158:159], v[46:47], v[78:79]      // 000000004600: D3B0404E 1D3A5D9E
	s_add_u32 s60, 0x200, s80                                  // 000000004608: 803C50FF 00000200
	s_cmp_lt_u32 s60, s81                                      // 000000004610: BF0A513C
	s_cselect_b32 s57, s57, 0                                  // 000000004614: 85398039
	s_add_u32 s60, 0x200, s80                                  // 000000004618: 803C50FF 00000200
	s_cmp_lt_u32 s60, s81                                      // 000000004620: BF0A513C
	s_cselect_b32 s58, s58, 0                                  // 000000004624: 853A803A
	s_cselect_b32 s90, s90, 0                                  // 000000004628: 855A805A
	s_add_u32 s20, s57, s20                                    // 00000000462C: 80141439
	s_addc_u32 s21, 0, s21                                     // 000000004630: 82151580
	s_add_u32 s24, s58, s24                                    // 000000004634: 8018183A
	s_addc_u32 s25, 0, s25                                     // 000000004638: 82191980
	s_add_u32 s92, s90, s92                                    // 00000000463C: 805C5C5A
	s_addc_u32 s93, 0, s93                                     // 000000004640: 825D5D80
	s_addk_i32 s80, 0x100                                      // 000000004644: B7500100
	s_cmp_lt_i32 s80, s81                                      // 000000004648: BF045150
	s_cbranch_scc0 label_0615                                  // 00000000464C: BF840001
	s_branch label_0334                                        // 000000004650: BF82FD1F

0000000000004654 <label_0615>:
	s_mov_b32 s20, 0                                           // 000000004654: BE940080
	s_cmp_lt_u32 s89, s66                                      // 000000004658: BF0A4259
	s_cselect_b32 s60, 0, 1                                    // 00000000465C: 853C8180
	s_lshl1_add_u32 s20, s20, s60                              // 000000004660: 97143C14
	s_cmp_lt_u32 s88, s66                                      // 000000004664: BF0A4258
	s_cselect_b32 s60, 0, 1                                    // 000000004668: 853C8180
	s_lshl1_add_u32 s20, s20, s60                              // 00000000466C: 97143C14
	s_cmp_lt_u32 s87, s66                                      // 000000004670: BF0A4257
	s_cselect_b32 s60, 0, 1                                    // 000000004674: 853C8180
	s_lshl1_add_u32 s20, s20, s60                              // 000000004678: 97143C14
	s_cmp_lt_u32 s86, s66                                      // 00000000467C: BF0A4256
	s_cselect_b32 s60, 0, 1                                    // 000000004680: 853C8180
	s_lshl1_add_u32 s20, s20, s60                              // 000000004684: 97143C14
	s_cmp_lt_u32 s85, s66                                      // 000000004688: BF0A4255
	s_cselect_b32 s60, 0, 1                                    // 00000000468C: 853C8180
	s_lshl1_add_u32 s20, s20, s60                              // 000000004690: 97143C14
	s_cmp_lt_u32 s84, s66                                      // 000000004694: BF0A4254
	s_cselect_b32 s60, 0, 1                                    // 000000004698: 853C8180
	s_lshl1_add_u32 s20, s20, s60                              // 00000000469C: 97143C14
	s_cmp_lt_u32 s83, s66                                      // 0000000046A0: BF0A4253
	s_cselect_b32 s60, 0, 1                                    // 0000000046A4: 853C8180
	s_lshl1_add_u32 s20, s20, s60                              // 0000000046A8: 97143C14
	s_cmp_lt_u32 s82, s66                                      // 0000000046AC: BF0A4252
	s_cselect_b32 s60, 0, 1                                    // 0000000046B0: 853C8180
	s_lshl1_add_u32 s20, s20, s60                              // 0000000046B4: 97143C14
	s_waitcnt vmcnt(12)                                        // 0000000046B8: BF8C0F7C
	buffer_load_dword v19, v6, s[16:19], 0 offen               // 0000000046BC: E0501000 80041306
	s_add_u32 s16, s79, s16                                    // 0000000046C4: 8010104F
	s_addc_u32 s17, 0, s17                                     // 0000000046C8: 82111180
	buffer_load_dwordx4 a[0:3], v37, s[12:15], 0 offen         // 0000000046CC: E05C1000 80830025
	buffer_load_dwordx4 a[4:7], v37, s[12:15], 0 offen offset:1024// 0000000046D4: E05C1400 80830425
	buffer_load_dwordx4 a[8:11], v38, s[12:15], 0 offen        // 0000000046DC: E05C1000 80830826
	buffer_load_dwordx4 a[12:15], v38, s[12:15], 0 offen offset:1024// 0000000046E4: E05C1400 80830C26
	v_mul_f32_e64 v46, -v128, s6                               // 0000000046EC: D105002E 20000D80
	v_mul_f32_e64 v47, -v129, s6                               // 0000000046F4: D105002F 20000D81
	v_mul_f32_e64 v48, -v130, s6                               // 0000000046FC: D1050030 20000D82
	v_mul_f32_e64 v49, -v131, s6                               // 000000004704: D1050031 20000D83
	v_exp_f32_e32 v46, v46                                     // 00000000470C: 7E5C412E
	v_exp_f32_e32 v47, v47                                     // 000000004710: 7E5E412F
	v_exp_f32_e32 v48, v48                                     // 000000004714: 7E604130
	v_exp_f32_e32 v49, v49                                     // 000000004718: 7E624131
	buffer_load_dwordx4 a[16:19], v39, s[12:15], 0 offen       // 00000000471C: E05C1000 80831027
	buffer_load_dwordx4 a[20:23], v39, s[12:15], 0 offen offset:1024// 000000004724: E05C1400 80831427
	buffer_load_dwordx4 a[24:27], v40, s[12:15], 0 offen       // 00000000472C: E05C1000 80831828
	buffer_load_dwordx4 a[28:31], v40, s[12:15], 0 offen offset:1024// 000000004734: E05C1400 80831C28
	s_add_u32 s12, s78, s12                                    // 00000000473C: 800C0C4E
	s_addc_u32 s13, 0, s13                                     // 000000004740: 820D0D80
	v_add_f32_e64 v46, v46, 1.0                                // 000000004744: D101002E 0001E52E
	v_add_f32_e64 v47, v47, 1.0                                // 00000000474C: D101002F 0001E52F
	v_add_f32_e64 v48, v48, 1.0                                // 000000004754: D1010030 0001E530
	v_add_f32_e64 v49, v49, 1.0                                // 00000000475C: D1010031 0001E531
	v_rcp_f32_e32 v46, v46                                     // 000000004764: 7E5C452E
	v_rcp_f32_e32 v47, v47                                     // 000000004768: 7E5E452F
	v_rcp_f32_e32 v48, v48                                     // 00000000476C: 7E604530
	v_rcp_f32_e32 v49, v49                                     // 000000004770: 7E624531
	v_mul_f32_e32 v128, v128, v46                              // 000000004774: 0B005D80
	v_mul_f32_e32 v129, v129, v47                              // 000000004778: 0B025F81
	v_mul_f32_e32 v130, v130, v48                              // 00000000477C: 0B046182
	v_mul_f32_e32 v131, v131, v49                              // 000000004780: 0B066383
	v_mul_f32_e32 v128, v128, v64                              // 000000004784: 0B008180
	v_mul_f32_e32 v129, v129, v65                              // 000000004788: 0B028381
	v_mul_f32_e32 v130, v130, v66                              // 00000000478C: 0B048582
	v_mul_f32_e32 v131, v131, v67                              // 000000004790: 0B068783
	s_waitcnt vmcnt(12)                                        // 000000004794: BF8C0F7C
	buffer_load_dwordx4 a[32:35], v37, s[12:15], 0 offen       // 000000004798: E05C1000 80832025
	buffer_load_dwordx4 a[36:39], v37, s[12:15], 0 offen offset:1024// 0000000047A0: E05C1400 80832425
	buffer_load_dwordx4 a[40:43], v38, s[12:15], 0 offen       // 0000000047A8: E05C1000 80832826
	buffer_load_dwordx4 a[44:47], v38, s[12:15], 0 offen offset:1024// 0000000047B0: E05C1400 80832C26
	v_mul_f32_e64 v46, -v132, s6                               // 0000000047B8: D105002E 20000D84
	v_mul_f32_e64 v47, -v133, s6                               // 0000000047C0: D105002F 20000D85
	v_mul_f32_e64 v48, -v134, s6                               // 0000000047C8: D1050030 20000D86
	v_mul_f32_e64 v49, -v135, s6                               // 0000000047D0: D1050031 20000D87
	v_exp_f32_e32 v46, v46                                     // 0000000047D8: 7E5C412E
	v_exp_f32_e32 v47, v47                                     // 0000000047DC: 7E5E412F
	v_exp_f32_e32 v48, v48                                     // 0000000047E0: 7E604130
	v_exp_f32_e32 v49, v49                                     // 0000000047E4: 7E624131
	buffer_load_dwordx4 a[48:51], v39, s[12:15], 0 offen       // 0000000047E8: E05C1000 80833027
	buffer_load_dwordx4 a[52:55], v39, s[12:15], 0 offen offset:1024// 0000000047F0: E05C1400 80833427
	buffer_load_dwordx4 a[56:59], v40, s[12:15], 0 offen       // 0000000047F8: E05C1000 80833828
	buffer_load_dwordx4 a[60:63], v40, s[12:15], 0 offen offset:1024// 000000004800: E05C1400 80833C28
	s_add_u32 s12, s56, s12                                    // 000000004808: 800C0C38
	s_addc_u32 s13, 0, s13                                     // 00000000480C: 820D0D80
	v_add_f32_e64 v46, v46, 1.0                                // 000000004810: D101002E 0001E52E
	v_add_f32_e64 v47, v47, 1.0                                // 000000004818: D101002F 0001E52F
	v_add_f32_e64 v48, v48, 1.0                                // 000000004820: D1010030 0001E530
	v_add_f32_e64 v49, v49, 1.0                                // 000000004828: D1010031 0001E531
	v_rcp_f32_e32 v46, v46                                     // 000000004830: 7E5C452E
	v_rcp_f32_e32 v47, v47                                     // 000000004834: 7E5E452F
	v_rcp_f32_e32 v48, v48                                     // 000000004838: 7E604530
	v_rcp_f32_e32 v49, v49                                     // 00000000483C: 7E624531
	v_mul_f32_e32 v132, v132, v46                              // 000000004840: 0B085D84
	v_mul_f32_e32 v133, v133, v47                              // 000000004844: 0B0A5F85
	v_mul_f32_e32 v134, v134, v48                              // 000000004848: 0B0C6186
	v_mul_f32_e32 v135, v135, v49                              // 00000000484C: 0B0E6387
	v_mul_f32_e32 v132, v132, v68                              // 000000004850: 0B088984
	v_mul_f32_e32 v133, v133, v69                              // 000000004854: 0B0A8B85
	v_mul_f32_e32 v134, v134, v70                              // 000000004858: 0B0C8D86
	v_mul_f32_e32 v135, v135, v71                              // 00000000485C: 0B0E8F87
	s_waitcnt vmcnt(12)                                        // 000000004860: BF8C0F7C
	buffer_load_dword v20, v6, s[16:19], 0 offen               // 000000004864: E0501000 80041406
	s_add_u32 s16, s79, s16                                    // 00000000486C: 8010104F
	s_addc_u32 s17, 0, s17                                     // 000000004870: 82111180
	buffer_load_dwordx4 a[64:67], v37, s[12:15], 0 offen       // 000000004874: E05C1000 80834025
	buffer_load_dwordx4 a[68:71], v37, s[12:15], 0 offen offset:1024// 00000000487C: E05C1400 80834425
	buffer_load_dwordx4 a[72:75], v38, s[12:15], 0 offen       // 000000004884: E05C1000 80834826
	buffer_load_dwordx4 a[76:79], v38, s[12:15], 0 offen offset:1024// 00000000488C: E05C1400 80834C26
	v_mul_f32_e64 v46, -v136, s6                               // 000000004894: D105002E 20000D88
	v_mul_f32_e64 v47, -v137, s6                               // 00000000489C: D105002F 20000D89
	v_mul_f32_e64 v48, -v138, s6                               // 0000000048A4: D1050030 20000D8A
	v_mul_f32_e64 v49, -v139, s6                               // 0000000048AC: D1050031 20000D8B
	v_exp_f32_e32 v46, v46                                     // 0000000048B4: 7E5C412E
	v_exp_f32_e32 v47, v47                                     // 0000000048B8: 7E5E412F
	v_exp_f32_e32 v48, v48                                     // 0000000048BC: 7E604130
	v_exp_f32_e32 v49, v49                                     // 0000000048C0: 7E624131
	buffer_load_dwordx4 a[80:83], v39, s[12:15], 0 offen       // 0000000048C4: E05C1000 80835027
	buffer_load_dwordx4 a[84:87], v39, s[12:15], 0 offen offset:1024// 0000000048CC: E05C1400 80835427
	buffer_load_dwordx4 a[88:91], v40, s[12:15], 0 offen       // 0000000048D4: E05C1000 80835828
	buffer_load_dwordx4 a[92:95], v40, s[12:15], 0 offen offset:1024// 0000000048DC: E05C1400 80835C28
	s_add_u32 s12, s78, s12                                    // 0000000048E4: 800C0C4E
	s_addc_u32 s13, 0, s13                                     // 0000000048E8: 820D0D80
	v_add_f32_e64 v46, v46, 1.0                                // 0000000048EC: D101002E 0001E52E
	v_add_f32_e64 v47, v47, 1.0                                // 0000000048F4: D101002F 0001E52F
	v_add_f32_e64 v48, v48, 1.0                                // 0000000048FC: D1010030 0001E530
	v_add_f32_e64 v49, v49, 1.0                                // 000000004904: D1010031 0001E531
	v_rcp_f32_e32 v46, v46                                     // 00000000490C: 7E5C452E
	v_rcp_f32_e32 v47, v47                                     // 000000004910: 7E5E452F
	v_rcp_f32_e32 v48, v48                                     // 000000004914: 7E604530
	v_rcp_f32_e32 v49, v49                                     // 000000004918: 7E624531
	v_mul_f32_e32 v136, v136, v46                              // 00000000491C: 0B105D88
	v_mul_f32_e32 v137, v137, v47                              // 000000004920: 0B125F89
	v_mul_f32_e32 v138, v138, v48                              // 000000004924: 0B14618A
	v_mul_f32_e32 v139, v139, v49                              // 000000004928: 0B16638B
	v_mul_f32_e32 v136, v136, v72                              // 00000000492C: 0B109188
	v_mul_f32_e32 v137, v137, v73                              // 000000004930: 0B129389
	v_mul_f32_e32 v138, v138, v74                              // 000000004934: 0B14958A
	v_mul_f32_e32 v139, v139, v75                              // 000000004938: 0B16978B
	s_waitcnt vmcnt(12)                                        // 00000000493C: BF8C0F7C
	buffer_load_dwordx4 a[96:99], v37, s[12:15], 0 offen       // 000000004940: E05C1000 80836025
	buffer_load_dwordx4 a[100:103], v37, s[12:15], 0 offen offset:1024// 000000004948: E05C1400 80836425
	buffer_load_dwordx4 a[104:107], v38, s[12:15], 0 offen     // 000000004950: E05C1000 80836826
	buffer_load_dwordx4 a[108:111], v38, s[12:15], 0 offen offset:1024// 000000004958: E05C1400 80836C26
	v_mul_f32_e64 v46, -v140, s6                               // 000000004960: D105002E 20000D8C
	v_mul_f32_e64 v47, -v141, s6                               // 000000004968: D105002F 20000D8D
	v_mul_f32_e64 v48, -v142, s6                               // 000000004970: D1050030 20000D8E
	v_mul_f32_e64 v49, -v143, s6                               // 000000004978: D1050031 20000D8F
	v_exp_f32_e32 v46, v46                                     // 000000004980: 7E5C412E
	v_exp_f32_e32 v47, v47                                     // 000000004984: 7E5E412F
	v_exp_f32_e32 v48, v48                                     // 000000004988: 7E604130
	v_exp_f32_e32 v49, v49                                     // 00000000498C: 7E624131
	buffer_load_dwordx4 a[112:115], v39, s[12:15], 0 offen     // 000000004990: E05C1000 80837027
	buffer_load_dwordx4 a[116:119], v39, s[12:15], 0 offen offset:1024// 000000004998: E05C1400 80837427
	buffer_load_dwordx4 a[120:123], v40, s[12:15], 0 offen     // 0000000049A0: E05C1000 80837828
	buffer_load_dwordx4 a[124:127], v40, s[12:15], 0 offen offset:1024// 0000000049A8: E05C1400 80837C28
	s_add_u32 s12, s56, s12                                    // 0000000049B0: 800C0C38
	s_addc_u32 s13, 0, s13                                     // 0000000049B4: 820D0D80
	v_add_f32_e64 v46, v46, 1.0                                // 0000000049B8: D101002E 0001E52E
	v_add_f32_e64 v47, v47, 1.0                                // 0000000049C0: D101002F 0001E52F
	v_add_f32_e64 v48, v48, 1.0                                // 0000000049C8: D1010030 0001E530
	v_add_f32_e64 v49, v49, 1.0                                // 0000000049D0: D1010031 0001E531
	v_rcp_f32_e32 v46, v46                                     // 0000000049D8: 7E5C452E
	v_rcp_f32_e32 v47, v47                                     // 0000000049DC: 7E5E452F
	v_rcp_f32_e32 v48, v48                                     // 0000000049E0: 7E604530
	v_rcp_f32_e32 v49, v49                                     // 0000000049E4: 7E624531
	v_mul_f32_e32 v140, v140, v46                              // 0000000049E8: 0B185D8C
	v_mul_f32_e32 v141, v141, v47                              // 0000000049EC: 0B1A5F8D
	v_mul_f32_e32 v142, v142, v48                              // 0000000049F0: 0B1C618E
	v_mul_f32_e32 v143, v143, v49                              // 0000000049F4: 0B1E638F
	v_mul_f32_e32 v140, v140, v76                              // 0000000049F8: 0B18998C
	v_mul_f32_e32 v141, v141, v77                              // 0000000049FC: 0B1A9B8D
	v_mul_f32_e32 v142, v142, v78                              // 000000004A00: 0B1C9D8E
	v_mul_f32_e32 v143, v143, v79                              // 000000004A04: 0B1E9F8F
	v_lshlrev_b32_e32 v46, 2, v0                               // 000000004A08: 245C0082
	s_mul_i32 s60, s82, s71                                    // 000000004A0C: 923C4752
	v_add_u32_e64 v80, v46, s60                                // 000000004A10: D1340050 0000792E
	v_mov_b32_e32 v81, 0                                       // 000000004A18: 7EA20280
	s_mul_i32 s60, s83, s71                                    // 000000004A1C: 923C4753
	v_add_u32_e64 v82, v46, s60                                // 000000004A20: D1340052 0000792E
	v_mov_b32_e32 v83, 0                                       // 000000004A28: 7EA60280
	s_mul_i32 s60, s84, s71                                    // 000000004A2C: 923C4754
	v_add_u32_e64 v84, v46, s60                                // 000000004A30: D1340054 0000792E
	v_mov_b32_e32 v85, 0                                       // 000000004A38: 7EAA0280
	s_mul_i32 s60, s85, s71                                    // 000000004A3C: 923C4755
	v_add_u32_e64 v86, v46, s60                                // 000000004A40: D1340056 0000792E
	v_mov_b32_e32 v87, 0                                       // 000000004A48: 7EAE0280
	v_mov_b32_e32 v26, 0x358637bd                              // 000000004A4C: 7E3402FF 358637BD
	v_max3_f32 v26, |v128|, |v129|, v26                        // 000000004A54: D1D3031A 046B0380
	v_max3_f32 v26, |v130|, |v131|, v26                        // 000000004A5C: D1D3031A 046B0782
	v_max3_f32 v26, |v132|, |v133|, v26                        // 000000004A64: D1D3031A 046B0B84
	v_max3_f32 v26, |v134|, |v135|, v26                        // 000000004A6C: D1D3031A 046B0F86
	v_mov_b32_e32 v46, v26                                     // 000000004A74: 7E5C031A
	s_nop 1                                                    // 000000004A78: BF800001
	v_permlane32_swap_b32_e32 v46, v26                         // 000000004A7C: 7E5CB51A
	v_max_f32_e32 v26, v46, v26                                // 000000004A80: 1634352E
	v_mov_b32_e32 v46, v26                                     // 000000004A84: 7E5C031A
	s_nop 1                                                    // 000000004A88: BF800001
	v_permlane16_swap_b32_e32 v46, v26                         // 000000004A8C: 7E5CB31A
	v_max_f32_e32 v26, v46, v26                                // 000000004A90: 1634352E
	v_lshlrev_b32_e32 v46, 2, v0                               // 000000004A94: 245C0082
	s_mul_i32 s60, 64, s7                                      // 000000004A98: 923C07C0
	v_add_u32_e32 v46, s60, v46                                // 000000004A9C: 685C5C3C
	s_mov_b32 s60, 0xffff                                      // 000000004AA0: BEBC00FF 0000FFFF
	s_mov_b32 s61, 0                                           // 000000004AA8: BEBD0080
	s_mov_b64 exec, s[60:61]                                   // 000000004AAC: BEFE013C
	ds_write_b32 v46, v26 offset:10752                         // 000000004AB0: D81A2A00 00001A2E
	s_mov_b32 s60, -1                                          // 000000004AB8: BEBC00C1
	s_mov_b32 s61, -1                                          // 000000004ABC: BEBD00C1
	s_mov_b64 exec, s[60:61]                                   // 000000004AC0: BEFE013C
	s_waitcnt lgkmcnt(0)                                       // 000000004AC4: BF8CC07F
	s_barrier                                                  // 000000004AC8: BF8A0000
	v_lshlrev_b32_e32 v46, 2, v0                               // 000000004ACC: 245C0082
	ds_read_b32 v144, v46 offset:10752                         // 000000004AD0: D86C2A00 9000002E
	s_waitcnt lgkmcnt(0)                                       // 000000004AD8: BF8CC07F
	v_mov_b32_e32 v46, v144                                    // 000000004ADC: 7E5C0390
	s_nop 1                                                    // 000000004AE0: BF800001
	v_permlane32_swap_b32_e32 v46, v144                        // 000000004AE4: 7E5CB590
	v_max_f32_e32 v144, v46, v144                              // 000000004AE8: 1721212E
	v_mov_b32_e32 v46, v144                                    // 000000004AEC: 7E5C0390
	s_nop 1                                                    // 000000004AF0: BF800001
	v_permlane16_swap_b32_e32 v46, v144                        // 000000004AF4: 7E5CB390
	v_max_f32_e32 v144, v46, v144                              // 000000004AF8: 1721212E
	v_max_f32_e32 v26, v144, v26                               // 000000004AFC: 16343590
	v_rcp_f32_e32 v26, v26                                     // 000000004B00: 7E34451A
	v_mov_b32_e32 v46, 0x43e00000                              // 000000004B04: 7E5C02FF 43E00000
	v_mul_f32_e32 v26, v46, v26                                // 000000004B0C: 0A34352E
	v_mul_f32_e32 v128, v26, v128                              // 000000004B10: 0B01011A
	v_mul_f32_e32 v129, v26, v129                              // 000000004B14: 0B03031A
	v_mul_f32_e32 v130, v26, v130                              // 000000004B18: 0B05051A
	v_mul_f32_e32 v131, v26, v131                              // 000000004B1C: 0B07071A
	v_cvt_pk_fp8_f32 v128, v128, v129                          // 000000004B20: D2A20080 00030380
	v_cvt_pk_fp8_f32 v128, v130, v131 op_sel:[0,0,1]           // 000000004B28: D2A24080 00030782
	v_mul_f32_e32 v132, v26, v132                              // 000000004B30: 0B09091A
	v_mul_f32_e32 v133, v26, v133                              // 000000004B34: 0B0B0B1A
	v_mul_f32_e32 v134, v26, v134                              // 000000004B38: 0B0D0D1A
	v_mul_f32_e32 v135, v26, v135                              // 000000004B3C: 0B0F0F1A
	v_cvt_pk_fp8_f32 v129, v132, v133                          // 000000004B40: D2A20081 00030B84
	v_cvt_pk_fp8_f32 v129, v134, v135 op_sel:[0,0,1]           // 000000004B48: D2A24081 00030F86
	v_rcp_f32_e32 v28, v26                                     // 000000004B50: 7E38451A
	v_nop                                                      // 000000004B54: 7E000000
	v_mov_b32_e32 v26, 0x358637bd                              // 000000004B58: 7E3402FF 358637BD
	v_max3_f32 v26, |v136|, |v137|, v26                        // 000000004B60: D1D3031A 046B1388
	v_max3_f32 v26, |v138|, |v139|, v26                        // 000000004B68: D1D3031A 046B178A
	v_max3_f32 v26, |v140|, |v141|, v26                        // 000000004B70: D1D3031A 046B1B8C
	v_max3_f32 v26, |v142|, |v143|, v26                        // 000000004B78: D1D3031A 046B1F8E
	v_mov_b32_e32 v46, v26                                     // 000000004B80: 7E5C031A
	s_nop 1                                                    // 000000004B84: BF800001
	v_permlane32_swap_b32_e32 v46, v26                         // 000000004B88: 7E5CB51A
	v_max_f32_e32 v26, v46, v26                                // 000000004B8C: 1634352E
	v_mov_b32_e32 v46, v26                                     // 000000004B90: 7E5C031A
	s_nop 1                                                    // 000000004B94: BF800001
	v_permlane16_swap_b32_e32 v46, v26                         // 000000004B98: 7E5CB31A
	v_max_f32_e32 v26, v46, v26                                // 000000004B9C: 1634352E
	v_lshlrev_b32_e32 v46, 2, v0                               // 000000004BA0: 245C0082
	s_mul_i32 s60, 64, s7                                      // 000000004BA4: 923C07C0
	v_add_u32_e32 v46, s60, v46                                // 000000004BA8: 685C5C3C
	s_mov_b32 s60, 0xffff                                      // 000000004BAC: BEBC00FF 0000FFFF
	s_mov_b32 s61, 0                                           // 000000004BB4: BEBD0080
	s_mov_b64 exec, s[60:61]                                   // 000000004BB8: BEFE013C
	ds_write_b32 v46, v26 offset:10752                         // 000000004BBC: D81A2A00 00001A2E
	s_mov_b32 s60, -1                                          // 000000004BC4: BEBC00C1
	s_mov_b32 s61, -1                                          // 000000004BC8: BEBD00C1
	s_mov_b64 exec, s[60:61]                                   // 000000004BCC: BEFE013C
	s_waitcnt lgkmcnt(0)                                       // 000000004BD0: BF8CC07F
	s_barrier                                                  // 000000004BD4: BF8A0000
	v_lshlrev_b32_e32 v46, 2, v0                               // 000000004BD8: 245C0082
	ds_read_b32 v144, v46 offset:10752                         // 000000004BDC: D86C2A00 9000002E
	s_waitcnt lgkmcnt(0)                                       // 000000004BE4: BF8CC07F
	v_mov_b32_e32 v46, v144                                    // 000000004BE8: 7E5C0390
	s_nop 1                                                    // 000000004BEC: BF800001
	v_permlane32_swap_b32_e32 v46, v144                        // 000000004BF0: 7E5CB590
	v_max_f32_e32 v144, v46, v144                              // 000000004BF4: 1721212E
	v_mov_b32_e32 v46, v144                                    // 000000004BF8: 7E5C0390
	s_nop 1                                                    // 000000004BFC: BF800001
	v_permlane16_swap_b32_e32 v46, v144                        // 000000004C00: 7E5CB390
	v_max_f32_e32 v144, v46, v144                              // 000000004C04: 1721212E
	v_max_f32_e32 v26, v144, v26                               // 000000004C08: 16343590
	v_rcp_f32_e32 v26, v26                                     // 000000004C0C: 7E34451A
	v_mov_b32_e32 v46, 0x43e00000                              // 000000004C10: 7E5C02FF 43E00000
	v_mul_f32_e32 v26, v46, v26                                // 000000004C18: 0A34352E
	v_mul_f32_e32 v136, v26, v136                              // 000000004C1C: 0B11111A
	v_mul_f32_e32 v137, v26, v137                              // 000000004C20: 0B13131A
	v_mul_f32_e32 v138, v26, v138                              // 000000004C24: 0B15151A
	v_mul_f32_e32 v139, v26, v139                              // 000000004C28: 0B17171A
	v_cvt_pk_fp8_f32 v130, v136, v137                          // 000000004C2C: D2A20082 00031388
	v_cvt_pk_fp8_f32 v130, v138, v139 op_sel:[0,0,1]           // 000000004C34: D2A24082 0003178A
	v_mul_f32_e32 v140, v26, v140                              // 000000004C3C: 0B19191A
	v_mul_f32_e32 v141, v26, v141                              // 000000004C40: 0B1B1B1A
	v_mul_f32_e32 v142, v26, v142                              // 000000004C44: 0B1D1D1A
	v_mul_f32_e32 v143, v26, v143                              // 000000004C48: 0B1F1F1A
	v_cvt_pk_fp8_f32 v131, v140, v141                          // 000000004C4C: D2A20083 00031B8C
	v_cvt_pk_fp8_f32 v131, v142, v143 op_sel:[0,0,1]           // 000000004C54: D2A24083 00031F8E
	v_rcp_f32_e32 v29, v26                                     // 000000004C5C: 7E3A451A
	v_nop                                                      // 000000004C60: 7E000000
	v_lshrrev_b32_e32 v46, 5, v0                               // 000000004C64: 205C0085
	v_lshlrev_b32_e32 v47, 6, v46                              // 000000004C68: 245E5C86
	v_and_b32_e32 v46, 31, v0                                  // 000000004C6C: 265C009F
	v_lshrrev_b32_e32 v48, 4, v46                              // 000000004C70: 20605C84
	v_add_u32_e32 v47, v48, v47                                // 000000004C74: 685E5F30
	v_and_b32_e32 v46, 15, v0                                  // 000000004C78: 265C008F
	v_lshlrev_b32_e32 v46, 1, v46                              // 000000004C7C: 245C5C81
	v_add_u32_e32 v47, v46, v47                                // 000000004C80: 685E5F2E
	v_lshlrev_b32_e32 v46, 2, v47                              // 000000004C84: 245C5E82
	s_mov_b32 s60, 0                                           // 000000004C88: BEBC0080
	s_lshr_b32 s61, s7, 1                                      // 000000004C8C: 8F3D8107
	s_mul_i32 s61, s61, 0x200                                  // 000000004C90: 923DFF3D 00000200
	s_add_u32 s60, s61, s60                                    // 000000004C98: 803C3C3D
	s_and_b32 s61, s7, 1                                       // 000000004C9C: 863D8107
	s_mul_i32 s61, s61, 0x80                                   // 000000004CA0: 923DFF3D 00000080
	s_add_u32 s60, s61, s60                                    // 000000004CA8: 803C3C3D
	v_add_u32_e64 v46, v46, s60                                // 000000004CAC: D134002E 0000792E
	ds_write_b32 v46, v128 offset:11776                        // 000000004CB4: D81A2E00 0000802E
	ds_write_b32 v46, v129 offset:12800                        // 000000004CBC: D81A3200 0000812E
	ds_write_b32 v46, v130 offset:13824                        // 000000004CC4: D81A3600 0000822E
	ds_write_b32 v46, v131 offset:14848                        // 000000004CCC: D81A3A00 0000832E
	s_waitcnt lgkmcnt(0)                                       // 000000004CD4: BF8CC07F
	s_barrier                                                  // 000000004CD8: BF8A0000
	v_and_b32_e32 v46, 31, v0                                  // 000000004CDC: 265C009F
	v_lshrrev_b32_e32 v46, 4, v46                              // 000000004CE0: 205C5C84
	v_lshlrev_b32_e32 v47, 5, v46                              // 000000004CE4: 245E5C85
	v_lshrrev_b32_e32 v46, 5, v0                               // 000000004CE8: 205C0085
	v_lshlrev_b32_e32 v46, 7, v46                              // 000000004CEC: 245C5C87
	v_add_u32_e32 v47, v46, v47                                // 000000004CF0: 685E5F2E
	v_and_b32_e32 v46, 15, v0                                  // 000000004CF4: 265C008F
	v_lshlrev_b32_e32 v46, 1, v46                              // 000000004CF8: 245C5C81
	v_add_u32_e32 v47, v46, v47                                // 000000004CFC: 685E5F2E
	v_lshlrev_b32_e32 v46, 2, v47                              // 000000004D00: 245C5E82
	ds_read_b64 v[128:129], v46 offset:11776                   // 000000004D04: D8EC2E00 8000002E
	ds_read_b64 v[130:131], v46 offset:12032                   // 000000004D0C: D8EC2F00 8200002E
	ds_read_b64 v[132:133], v46 offset:12800                   // 000000004D14: D8EC3200 8400002E
	ds_read_b64 v[134:135], v46 offset:13056                   // 000000004D1C: D8EC3300 8600002E
	ds_read_b64 v[136:137], v46 offset:13824                   // 000000004D24: D8EC3600 8800002E
	ds_read_b64 v[138:139], v46 offset:14080                   // 000000004D2C: D8EC3700 8A00002E
	ds_read_b64 v[140:141], v46 offset:14848                   // 000000004D34: D8EC3A00 8C00002E
	ds_read_b64 v[142:143], v46 offset:15104                   // 000000004D3C: D8EC3B00 8E00002E
	s_waitcnt lgkmcnt(0)                                       // 000000004D44: BF8CC07F
	s_barrier                                                  // 000000004D48: BF8A0000
	v_mov_b32_e32 v160, 0                                      // 000000004D4C: 7F400280
	v_mov_b32_e32 v176, 0                                      // 000000004D50: 7F600280
	v_mov_b32_e32 v161, 0                                      // 000000004D54: 7F420280
	v_mov_b32_e32 v177, 0                                      // 000000004D58: 7F620280
	v_mov_b32_e32 v162, 0                                      // 000000004D5C: 7F440280
	v_mov_b32_e32 v178, 0                                      // 000000004D60: 7F640280
	v_mov_b32_e32 v163, 0                                      // 000000004D64: 7F460280
	v_mov_b32_e32 v179, 0                                      // 000000004D68: 7F660280
	v_mov_b32_e32 v164, 0                                      // 000000004D6C: 7F480280
	v_mov_b32_e32 v180, 0                                      // 000000004D70: 7F680280
	v_mov_b32_e32 v165, 0                                      // 000000004D74: 7F4A0280
	v_mov_b32_e32 v181, 0                                      // 000000004D78: 7F6A0280
	v_mov_b32_e32 v166, 0                                      // 000000004D7C: 7F4C0280
	v_mov_b32_e32 v182, 0                                      // 000000004D80: 7F6C0280
	v_mov_b32_e32 v167, 0                                      // 000000004D84: 7F4E0280
	v_mov_b32_e32 v183, 0                                      // 000000004D88: 7F6E0280
	v_mov_b32_e32 v168, 0                                      // 000000004D8C: 7F500280
	v_mov_b32_e32 v184, 0                                      // 000000004D90: 7F700280
	v_mov_b32_e32 v169, 0                                      // 000000004D94: 7F520280
	v_mov_b32_e32 v185, 0                                      // 000000004D98: 7F720280
	v_mov_b32_e32 v170, 0                                      // 000000004D9C: 7F540280
	v_mov_b32_e32 v186, 0                                      // 000000004DA0: 7F740280
	v_mov_b32_e32 v171, 0                                      // 000000004DA4: 7F560280
	v_mov_b32_e32 v187, 0                                      // 000000004DA8: 7F760280
	v_mov_b32_e32 v172, 0                                      // 000000004DAC: 7F580280
	v_mov_b32_e32 v188, 0                                      // 000000004DB0: 7F780280
	v_mov_b32_e32 v173, 0                                      // 000000004DB4: 7F5A0280
	v_mov_b32_e32 v189, 0                                      // 000000004DB8: 7F7A0280
	v_mov_b32_e32 v174, 0                                      // 000000004DBC: 7F5C0280
	v_mov_b32_e32 v190, 0                                      // 000000004DC0: 7F7C0280
	v_mov_b32_e32 v175, 0                                      // 000000004DC4: 7F5E0280
	v_mov_b32_e32 v191, 0                                      // 000000004DC8: 7F7E0280
	ds_write_b64 v4, v[160:161] offset:11776                   // 000000004DCC: D89A2E00 0000A004
	ds_write_b64 v4, v[162:163] offset:13952                   // 000000004DD4: D89A3680 0000A204
	ds_write_b64 v4, v[164:165] offset:16128                   // 000000004DDC: D89A3F00 0000A404
	ds_write_b64 v4, v[166:167] offset:18304                   // 000000004DE4: D89A4780 0000A604
	s_mov_b32 s80, 0                                           // 000000004DEC: BED00080

0000000000004df0 <label_07FC>:
	s_waitcnt vmcnt(29) lgkmcnt(0)                             // 000000004DF0: BF8C407D
	s_barrier                                                  // 000000004DF4: BF8A0000
	v_mfma_f32_16x16x128_f8f6f4 v[160:163], a[0:7], v[128:135], 0// 000000004DF8: D3AD00A0 0A030100
	ds_read_b32 v64, v5 offset:11776                           // 000000004E00: D86C2E00 40000005
	ds_read_b32 v65, v5 offset:16128                           // 000000004E08: D86C3F00 41000005
	ds_read_b32 v66, v5 offset:11784                           // 000000004E10: D86C2E08 42000005
	ds_read_b32 v67, v5 offset:16136                           // 000000004E18: D86C3F08 43000005
	ds_read_b32 v68, v5 offset:11808                           // 000000004E20: D86C2E20 44000005
	ds_read_b32 v69, v5 offset:16160                           // 000000004E28: D86C3F20 45000005
	ds_read_b32 v70, v5 offset:11816                           // 000000004E30: D86C2E28 46000005
	ds_read_b32 v71, v5 offset:16168                           // 000000004E38: D86C3F28 47000005
	v_mfma_f32_16x16x128_f8f6f4 v[164:167], a[8:15], v[128:135], 0// 000000004E40: D3AD00A4 0A030108
	buffer_load_dword v21, v6, s[16:19], 0 offen               // 000000004E48: E0501000 80041506
	buffer_load_dwordx4 a[128:131], v37, s[12:15], 0 offen     // 000000004E50: E05C1000 80838025
	buffer_load_dwordx4 a[132:135], v37, s[12:15], 0 offen offset:1024// 000000004E58: E05C1400 80838425
	buffer_load_dwordx4 a[136:139], v38, s[12:15], 0 offen     // 000000004E60: E05C1000 80838826
	buffer_load_dwordx4 a[140:143], v38, s[12:15], 0 offen offset:1024// 000000004E68: E05C1400 80838C26
	s_waitcnt vmcnt(29)                                        // 000000004E70: BF8C4F7D
	v_mfma_f32_16x16x128_f8f6f4 v[168:171], a[16:23], v[128:135], 0// 000000004E74: D3AD00A8 0A030110
	v_mfma_f32_16x16x128_f8f6f4 v[172:175], a[24:31], v[128:135], 0// 000000004E7C: D3AD00AC 0A030118
	buffer_load_dwordx4 a[144:147], v39, s[12:15], 0 offen     // 000000004E84: E05C1000 80839027
	buffer_load_dwordx4 a[148:151], v39, s[12:15], 0 offen offset:1024// 000000004E8C: E05C1400 80839427
	buffer_load_dwordx4 a[152:155], v40, s[12:15], 0 offen     // 000000004E94: E05C1000 80839828
	buffer_load_dwordx4 a[156:159], v40, s[12:15], 0 offen offset:1024// 000000004E9C: E05C1400 80839C28
	s_add_u32 s12, s78, s12                                    // 000000004EA4: 800C0C4E
	s_addc_u32 s13, 0, s13                                     // 000000004EA8: 820D0D80
	v_mul_f32_dpp v46, v19, v28 row_newbcast:0 row_mask:0xf bank_mask:0xf// 000000004EAC: 0A5C38FA FF015013
	v_mov_b32_e32 v47, v46                                     // 000000004EB4: 7E5E032E
	v_pk_mul_f32 v[160:161], v[46:47], v[160:161]              // 000000004EB8: D3B140A0 1803412E
	v_pk_mul_f32 v[162:163], v[46:47], v[162:163]              // 000000004EC0: D3B140A2 1803452E
	v_pk_mul_f32 v[164:165], v[46:47], v[164:165]              // 000000004EC8: D3B140A4 1803492E
	v_pk_mul_f32 v[166:167], v[46:47], v[166:167]              // 000000004ED0: D3B140A6 18034D2E
	v_mul_f32_dpp v46, v19, v28 row_newbcast:1 row_mask:0xf bank_mask:0xf// 000000004ED8: 0A5C38FA FF015113
	v_mov_b32_e32 v47, v46                                     // 000000004EE0: 7E5E032E
	v_pk_mul_f32 v[168:169], v[46:47], v[168:169]              // 000000004EE4: D3B140A8 1803512E
	v_pk_mul_f32 v[170:171], v[46:47], v[170:171]              // 000000004EEC: D3B140AA 1803552E
	v_pk_mul_f32 v[172:173], v[46:47], v[172:173]              // 000000004EF4: D3B140AC 1803592E
	v_pk_mul_f32 v[174:175], v[46:47], v[174:175]              // 000000004EFC: D3B140AE 18035D2E
	s_waitcnt vmcnt(29)                                        // 000000004F04: BF8C4F7D
	v_mfma_f32_16x16x128_f8f6f4 v[144:147], a[32:39], v[136:143], 0// 000000004F08: D3AD0090 0A031120
	ds_write_b64 v4, v[176:177] offset:29184                   // 000000004F10: D89A7200 0000B004
	ds_write_b64 v4, v[178:179] offset:31360                   // 000000004F18: D89A7A80 0000B204
	ds_write_b64 v4, v[180:181] offset:33536                   // 000000004F20: D89A8300 0000B404
	ds_write_b64 v4, v[182:183] offset:35712                   // 000000004F28: D89A8B80 0000B604
	v_mfma_f32_16x16x128_f8f6f4 v[148:151], a[40:47], v[136:143], 0// 000000004F30: D3AD0094 0A031128
	buffer_load_dwordx4 a[160:163], v37, s[12:15], 0 offen     // 000000004F38: E05C1000 8083A025
	buffer_load_dwordx4 a[164:167], v37, s[12:15], 0 offen offset:1024// 000000004F40: E05C1400 8083A425
	buffer_load_dwordx4 a[168:171], v38, s[12:15], 0 offen     // 000000004F48: E05C1000 8083A826
	buffer_load_dwordx4 a[172:175], v38, s[12:15], 0 offen offset:1024// 000000004F50: E05C1400 8083AC26
	s_waitcnt vmcnt(29)                                        // 000000004F58: BF8C4F7D
	v_mfma_f32_16x16x128_f8f6f4 v[152:155], a[48:55], v[136:143], 0// 000000004F5C: D3AD0098 0A031130
	v_mfma_f32_16x16x128_f8f6f4 v[156:159], a[56:63], v[136:143], 0// 000000004F64: D3AD009C 0A031138
	buffer_load_dwordx4 a[176:179], v39, s[12:15], 0 offen     // 000000004F6C: E05C1000 8083B027
	buffer_load_dwordx4 a[180:183], v39, s[12:15], 0 offen offset:1024// 000000004F74: E05C1400 8083B427
	buffer_load_dwordx4 a[184:187], v40, s[12:15], 0 offen     // 000000004F7C: E05C1000 8083B828
	buffer_load_dwordx4 a[188:191], v40, s[12:15], 0 offen offset:1024// 000000004F84: E05C1400 8083BC28
	v_mul_f32_dpp v46, v19, v29 row_newbcast:2 row_mask:0xf bank_mask:0xf// 000000004F8C: 0A5C3AFA FF015213
	v_mov_b32_e32 v47, v46                                     // 000000004F94: 7E5E032E
	v_pk_fma_f32 v[160:161], v[144:145], v[46:47], v[160:161]  // 000000004F98: D3B040A0 1E825D90
	v_pk_fma_f32 v[162:163], v[146:147], v[46:47], v[162:163]  // 000000004FA0: D3B040A2 1E8A5D92
	v_pk_fma_f32 v[164:165], v[148:149], v[46:47], v[164:165]  // 000000004FA8: D3B040A4 1E925D94
	v_pk_fma_f32 v[166:167], v[150:151], v[46:47], v[166:167]  // 000000004FB0: D3B040A6 1E9A5D96
	v_mul_f32_dpp v46, v19, v29 row_newbcast:3 row_mask:0xf bank_mask:0xf// 000000004FB8: 0A5C3AFA FF015313
	v_mov_b32_e32 v47, v46                                     // 000000004FC0: 7E5E032E
	v_pk_fma_f32 v[168:169], v[152:153], v[46:47], v[168:169]  // 000000004FC4: D3B040A8 1EA25D98
	v_pk_fma_f32 v[170:171], v[154:155], v[46:47], v[170:171]  // 000000004FCC: D3B040AA 1EAA5D9A
	v_pk_fma_f32 v[172:173], v[156:157], v[46:47], v[172:173]  // 000000004FD4: D3B040AC 1EB25D9C
	v_pk_fma_f32 v[174:175], v[158:159], v[46:47], v[174:175]  // 000000004FDC: D3B040AE 1EBA5D9E
	s_add_u32 s60, 0x300, s80                                  // 000000004FE4: 803C50FF 00000300
	s_cmp_lt_u32 s60, s81                                      // 000000004FEC: BF0A513C
	s_cselect_b32 s56, s56, 0                                  // 000000004FF0: 85388038
	s_cselect_b32 s78, s78, 0                                  // 000000004FF4: 854E804E
	s_cselect_b32 s79, s79, 0                                  // 000000004FF8: 854F804F
	s_add_u32 s12, s56, s12                                    // 000000004FFC: 800C0C38
	s_addc_u32 s13, 0, s13                                     // 000000005000: 820D0D80
	s_add_u32 s16, s79, s16                                    // 000000005004: 8010104F
	s_addc_u32 s17, 0, s17                                     // 000000005008: 82111180
	v_mov_b32_e32 v46, v23                                     // 00000000500C: 7E5C0317
	v_mov_b32_e32 v47, v23                                     // 000000005010: 7E5E0317
	v_pk_mul_f32 v[160:161], v[46:47], v[160:161]              // 000000005014: D3B140A0 1803412E
	v_pk_mul_f32 v[162:163], v[46:47], v[162:163]              // 00000000501C: D3B140A2 1803452E
	v_pk_mul_f32 v[164:165], v[46:47], v[164:165]              // 000000005024: D3B140A4 1803492E
	v_pk_mul_f32 v[166:167], v[46:47], v[166:167]              // 00000000502C: D3B140A6 18034D2E
	v_pk_mul_f32 v[168:169], v[46:47], v[168:169]              // 000000005034: D3B140A8 1803512E
	v_pk_mul_f32 v[170:171], v[46:47], v[170:171]              // 00000000503C: D3B140AA 1803552E
	v_pk_mul_f32 v[172:173], v[46:47], v[172:173]              // 000000005044: D3B140AC 1803592E
	v_pk_mul_f32 v[174:175], v[46:47], v[174:175]              // 00000000504C: D3B140AE 18035D2E
	v_cvt_pk_bf16_f32 v160, v160, v161                         // 000000005054: D26800A0 000343A0
	v_cvt_pk_bf16_f32 v161, v162, v163                         // 00000000505C: D26800A1 000347A2
	v_cvt_pk_bf16_f32 v162, v164, v165                         // 000000005064: D26800A2 00034BA4
	v_cvt_pk_bf16_f32 v163, v166, v167                         // 00000000506C: D26800A3 00034FA6
	v_cvt_pk_bf16_f32 v164, v168, v169                         // 000000005074: D26800A4 000353A8
	v_cvt_pk_bf16_f32 v165, v170, v171                         // 00000000507C: D26800A5 000357AA
	v_cvt_pk_bf16_f32 v166, v172, v173                         // 000000005084: D26800A6 00035BAC
	v_cvt_pk_bf16_f32 v167, v174, v175                         // 00000000508C: D26800A7 00035FAE
	s_cmp_ge_u32 s80, 0x200                                    // 000000005094: BF09FF50 00000200
	s_cselect_b32 s59, 0x200, s59                              // 00000000509C: 853B3BFF 00000200
	s_waitcnt lgkmcnt(0)                                       // 0000000050A4: BF8CC07F
	s_barrier                                                  // 0000000050A8: BF8A0000
	s_setvskip s20, 0                                          // 0000000050AC: BF108014
	global_atomic_pk_add_bf16 v80, v64, s[8:9]                 // 0000000050B0: DD488000 00084050
	s_setvskip 0, 0                                            // 0000000050B8: BF108080
	s_setvskip s20, 0                                          // 0000000050BC: BF108014
	global_atomic_pk_add_bf16 v80, v65, s[8:9] offset:256      // 0000000050C0: DD488100 00084150
	s_setvskip 0, 0                                            // 0000000050C8: BF108080
	s_setvskip s20, 1                                          // 0000000050CC: BF108114
	global_atomic_pk_add_bf16 v82, v66, s[8:9]                 // 0000000050D0: DD488000 00084252
	s_setvskip 0, 0                                            // 0000000050D8: BF108080
	s_setvskip s20, 1                                          // 0000000050DC: BF108114
	global_atomic_pk_add_bf16 v82, v67, s[8:9] offset:256      // 0000000050E0: DD488100 00084352
	s_setvskip 0, 0                                            // 0000000050E8: BF108080
	s_setvskip s20, 2                                          // 0000000050EC: BF108214
	global_atomic_pk_add_bf16 v84, v68, s[8:9]                 // 0000000050F0: DD488000 00084454
	s_setvskip 0, 0                                            // 0000000050F8: BF108080
	s_setvskip s20, 2                                          // 0000000050FC: BF108214
	global_atomic_pk_add_bf16 v84, v69, s[8:9] offset:256      // 000000005100: DD488100 00084554
	s_setvskip 0, 0                                            // 000000005108: BF108080
	s_setvskip s20, 3                                          // 00000000510C: BF108314
	global_atomic_pk_add_bf16 v86, v70, s[8:9]                 // 000000005110: DD488000 00084656
	s_setvskip 0, 0                                            // 000000005118: BF108080
	s_setvskip s20, 3                                          // 00000000511C: BF108314
	global_atomic_pk_add_bf16 v86, v71, s[8:9] offset:256      // 000000005120: DD488100 00084756
	s_setvskip 0, 0                                            // 000000005128: BF108080
	s_add_u32 s8, s59, s8                                      // 00000000512C: 8008083B
	s_addc_u32 s9, 0, s9                                       // 000000005130: 82090980
	s_addk_i32 s80, 0x100                                      // 000000005134: B7500100
	s_cmp_lt_i32 s80, s81                                      // 000000005138: BF045150
	s_cbranch_scc0 label_0CF5                                  // 00000000513C: BF840425
	s_waitcnt vmcnt(29) lgkmcnt(0)                             // 000000005140: BF8C407D
	s_barrier                                                  // 000000005144: BF8A0000
	v_mfma_f32_16x16x128_f8f6f4 v[176:179], a[64:71], v[128:135], 0// 000000005148: D3AD00B0 0A030140
	ds_read_b32 v64, v5 offset:29184                           // 000000005150: D86C7200 40000005
	ds_read_b32 v65, v5 offset:33536                           // 000000005158: D86C8300 41000005
	ds_read_b32 v66, v5 offset:29192                           // 000000005160: D86C7208 42000005
	ds_read_b32 v67, v5 offset:33544                           // 000000005168: D86C8308 43000005
	ds_read_b32 v68, v5 offset:29216                           // 000000005170: D86C7220 44000005
	ds_read_b32 v69, v5 offset:33568                           // 000000005178: D86C8320 45000005
	ds_read_b32 v70, v5 offset:29224                           // 000000005180: D86C7228 46000005
	ds_read_b32 v71, v5 offset:33576                           // 000000005188: D86C8328 47000005
	v_mfma_f32_16x16x128_f8f6f4 v[180:183], a[72:79], v[128:135], 0// 000000005190: D3AD00B4 0A030148
	buffer_load_dword v19, v6, s[16:19], 0 offen               // 000000005198: E0501000 80041306
	buffer_load_dwordx4 a[0:3], v37, s[12:15], 0 offen         // 0000000051A0: E05C1000 80830025
	buffer_load_dwordx4 a[4:7], v37, s[12:15], 0 offen offset:1024// 0000000051A8: E05C1400 80830425
	buffer_load_dwordx4 a[8:11], v38, s[12:15], 0 offen        // 0000000051B0: E05C1000 80830826
	buffer_load_dwordx4 a[12:15], v38, s[12:15], 0 offen offset:1024// 0000000051B8: E05C1400 80830C26
	s_waitcnt vmcnt(29)                                        // 0000000051C0: BF8C4F7D
	v_mfma_f32_16x16x128_f8f6f4 v[184:187], a[80:87], v[128:135], 0// 0000000051C4: D3AD00B8 0A030150
	v_mfma_f32_16x16x128_f8f6f4 v[188:191], a[88:95], v[128:135], 0// 0000000051CC: D3AD00BC 0A030158
	buffer_load_dwordx4 a[16:19], v39, s[12:15], 0 offen       // 0000000051D4: E05C1000 80831027
	buffer_load_dwordx4 a[20:23], v39, s[12:15], 0 offen offset:1024// 0000000051DC: E05C1400 80831427
	buffer_load_dwordx4 a[24:27], v40, s[12:15], 0 offen       // 0000000051E4: E05C1000 80831828
	buffer_load_dwordx4 a[28:31], v40, s[12:15], 0 offen offset:1024// 0000000051EC: E05C1400 80831C28
	s_add_u32 s12, s78, s12                                    // 0000000051F4: 800C0C4E
	s_addc_u32 s13, 0, s13                                     // 0000000051F8: 820D0D80
	v_mul_f32_dpp v46, v20, v28 row_newbcast:0 row_mask:0xf bank_mask:0xf// 0000000051FC: 0A5C38FA FF015014
	v_mov_b32_e32 v47, v46                                     // 000000005204: 7E5E032E
	v_pk_mul_f32 v[176:177], v[46:47], v[176:177]              // 000000005208: D3B140B0 1803612E
	v_pk_mul_f32 v[178:179], v[46:47], v[178:179]              // 000000005210: D3B140B2 1803652E
	v_pk_mul_f32 v[180:181], v[46:47], v[180:181]              // 000000005218: D3B140B4 1803692E
	v_pk_mul_f32 v[182:183], v[46:47], v[182:183]              // 000000005220: D3B140B6 18036D2E
	v_mul_f32_dpp v46, v20, v28 row_newbcast:1 row_mask:0xf bank_mask:0xf// 000000005228: 0A5C38FA FF015114
	v_mov_b32_e32 v47, v46                                     // 000000005230: 7E5E032E
	v_pk_mul_f32 v[184:185], v[46:47], v[184:185]              // 000000005234: D3B140B8 1803712E
	v_pk_mul_f32 v[186:187], v[46:47], v[186:187]              // 00000000523C: D3B140BA 1803752E
	v_pk_mul_f32 v[188:189], v[46:47], v[188:189]              // 000000005244: D3B140BC 1803792E
	v_pk_mul_f32 v[190:191], v[46:47], v[190:191]              // 00000000524C: D3B140BE 18037D2E
	s_waitcnt vmcnt(29)                                        // 000000005254: BF8C4F7D
	v_mfma_f32_16x16x128_f8f6f4 v[144:147], a[96:103], v[136:143], 0// 000000005258: D3AD0090 0A031160
	ds_write_b64 v4, v[160:161] offset:11776                   // 000000005260: D89A2E00 0000A004
	ds_write_b64 v4, v[162:163] offset:13952                   // 000000005268: D89A3680 0000A204
	ds_write_b64 v4, v[164:165] offset:16128                   // 000000005270: D89A3F00 0000A404
	ds_write_b64 v4, v[166:167] offset:18304                   // 000000005278: D89A4780 0000A604
	v_mfma_f32_16x16x128_f8f6f4 v[148:151], a[104:111], v[136:143], 0// 000000005280: D3AD0094 0A031168
	buffer_load_dwordx4 a[32:35], v37, s[12:15], 0 offen       // 000000005288: E05C1000 80832025
	buffer_load_dwordx4 a[36:39], v37, s[12:15], 0 offen offset:1024// 000000005290: E05C1400 80832425
	buffer_load_dwordx4 a[40:43], v38, s[12:15], 0 offen       // 000000005298: E05C1000 80832826
	buffer_load_dwordx4 a[44:47], v38, s[12:15], 0 offen offset:1024// 0000000052A0: E05C1400 80832C26
	s_waitcnt vmcnt(29)                                        // 0000000052A8: BF8C4F7D
	v_mfma_f32_16x16x128_f8f6f4 v[152:155], a[112:119], v[136:143], 0// 0000000052AC: D3AD0098 0A031170
	v_mfma_f32_16x16x128_f8f6f4 v[156:159], a[120:127], v[136:143], 0// 0000000052B4: D3AD009C 0A031178
	buffer_load_dwordx4 a[48:51], v39, s[12:15], 0 offen       // 0000000052BC: E05C1000 80833027
	buffer_load_dwordx4 a[52:55], v39, s[12:15], 0 offen offset:1024// 0000000052C4: E05C1400 80833427
	buffer_load_dwordx4 a[56:59], v40, s[12:15], 0 offen       // 0000000052CC: E05C1000 80833828
	buffer_load_dwordx4 a[60:63], v40, s[12:15], 0 offen offset:1024// 0000000052D4: E05C1400 80833C28
	v_mul_f32_dpp v46, v20, v29 row_newbcast:2 row_mask:0xf bank_mask:0xf// 0000000052DC: 0A5C3AFA FF015214
	v_mov_b32_e32 v47, v46                                     // 0000000052E4: 7E5E032E
	v_pk_fma_f32 v[176:177], v[144:145], v[46:47], v[176:177]  // 0000000052E8: D3B040B0 1EC25D90
	v_pk_fma_f32 v[178:179], v[146:147], v[46:47], v[178:179]  // 0000000052F0: D3B040B2 1ECA5D92
	v_pk_fma_f32 v[180:181], v[148:149], v[46:47], v[180:181]  // 0000000052F8: D3B040B4 1ED25D94
	v_pk_fma_f32 v[182:183], v[150:151], v[46:47], v[182:183]  // 000000005300: D3B040B6 1EDA5D96
	v_mul_f32_dpp v46, v20, v29 row_newbcast:3 row_mask:0xf bank_mask:0xf// 000000005308: 0A5C3AFA FF015314
	v_mov_b32_e32 v47, v46                                     // 000000005310: 7E5E032E
	v_pk_fma_f32 v[184:185], v[152:153], v[46:47], v[184:185]  // 000000005314: D3B040B8 1EE25D98
	v_pk_fma_f32 v[186:187], v[154:155], v[46:47], v[186:187]  // 00000000531C: D3B040BA 1EEA5D9A
	v_pk_fma_f32 v[188:189], v[156:157], v[46:47], v[188:189]  // 000000005324: D3B040BC 1EF25D9C
	v_pk_fma_f32 v[190:191], v[158:159], v[46:47], v[190:191]  // 00000000532C: D3B040BE 1EFA5D9E
	s_add_u32 s60, 0x300, s80                                  // 000000005334: 803C50FF 00000300
	s_cmp_lt_u32 s60, s81                                      // 00000000533C: BF0A513C
	s_cselect_b32 s56, s56, 0                                  // 000000005340: 85388038
	s_cselect_b32 s78, s78, 0                                  // 000000005344: 854E804E
	s_cselect_b32 s79, s79, 0                                  // 000000005348: 854F804F
	s_add_u32 s12, s56, s12                                    // 00000000534C: 800C0C38
	s_addc_u32 s13, 0, s13                                     // 000000005350: 820D0D80
	s_add_u32 s16, s79, s16                                    // 000000005354: 8010104F
	s_addc_u32 s17, 0, s17                                     // 000000005358: 82111180
	v_mov_b32_e32 v46, v23                                     // 00000000535C: 7E5C0317
	v_mov_b32_e32 v47, v23                                     // 000000005360: 7E5E0317
	v_pk_mul_f32 v[176:177], v[46:47], v[176:177]              // 000000005364: D3B140B0 1803612E
	v_pk_mul_f32 v[178:179], v[46:47], v[178:179]              // 00000000536C: D3B140B2 1803652E
	v_pk_mul_f32 v[180:181], v[46:47], v[180:181]              // 000000005374: D3B140B4 1803692E
	v_pk_mul_f32 v[182:183], v[46:47], v[182:183]              // 00000000537C: D3B140B6 18036D2E
	v_pk_mul_f32 v[184:185], v[46:47], v[184:185]              // 000000005384: D3B140B8 1803712E
	v_pk_mul_f32 v[186:187], v[46:47], v[186:187]              // 00000000538C: D3B140BA 1803752E
	v_pk_mul_f32 v[188:189], v[46:47], v[188:189]              // 000000005394: D3B140BC 1803792E
	v_pk_mul_f32 v[190:191], v[46:47], v[190:191]              // 00000000539C: D3B140BE 18037D2E
	v_cvt_pk_bf16_f32 v176, v176, v177                         // 0000000053A4: D26800B0 000363B0
	v_cvt_pk_bf16_f32 v177, v178, v179                         // 0000000053AC: D26800B1 000367B2
	v_cvt_pk_bf16_f32 v178, v180, v181                         // 0000000053B4: D26800B2 00036BB4
	v_cvt_pk_bf16_f32 v179, v182, v183                         // 0000000053BC: D26800B3 00036FB6
	v_cvt_pk_bf16_f32 v180, v184, v185                         // 0000000053C4: D26800B4 000373B8
	v_cvt_pk_bf16_f32 v181, v186, v187                         // 0000000053CC: D26800B5 000377BA
	v_cvt_pk_bf16_f32 v182, v188, v189                         // 0000000053D4: D26800B6 00037BBC
	v_cvt_pk_bf16_f32 v183, v190, v191                         // 0000000053DC: D26800B7 00037FBE
	s_cmp_ge_u32 s80, 0x200                                    // 0000000053E4: BF09FF50 00000200
	s_cselect_b32 s59, 0x200, s59                              // 0000000053EC: 853B3BFF 00000200
	s_waitcnt lgkmcnt(0)                                       // 0000000053F4: BF8CC07F
	s_barrier                                                  // 0000000053F8: BF8A0000
	s_setvskip s20, 0                                          // 0000000053FC: BF108014
	global_atomic_pk_add_bf16 v80, v64, s[8:9]                 // 000000005400: DD488000 00084050
	s_setvskip 0, 0                                            // 000000005408: BF108080
	s_setvskip s20, 0                                          // 00000000540C: BF108014
	global_atomic_pk_add_bf16 v80, v65, s[8:9] offset:256      // 000000005410: DD488100 00084150
	s_setvskip 0, 0                                            // 000000005418: BF108080
	s_setvskip s20, 1                                          // 00000000541C: BF108114
	global_atomic_pk_add_bf16 v82, v66, s[8:9]                 // 000000005420: DD488000 00084252
	s_setvskip 0, 0                                            // 000000005428: BF108080
	s_setvskip s20, 1                                          // 00000000542C: BF108114
	global_atomic_pk_add_bf16 v82, v67, s[8:9] offset:256      // 000000005430: DD488100 00084352
	s_setvskip 0, 0                                            // 000000005438: BF108080
	s_setvskip s20, 2                                          // 00000000543C: BF108214
	global_atomic_pk_add_bf16 v84, v68, s[8:9]                 // 000000005440: DD488000 00084454
	s_setvskip 0, 0                                            // 000000005448: BF108080
	s_setvskip s20, 2                                          // 00000000544C: BF108214
	global_atomic_pk_add_bf16 v84, v69, s[8:9] offset:256      // 000000005450: DD488100 00084554
	s_setvskip 0, 0                                            // 000000005458: BF108080
	s_setvskip s20, 3                                          // 00000000545C: BF108314
	global_atomic_pk_add_bf16 v86, v70, s[8:9]                 // 000000005460: DD488000 00084656
	s_setvskip 0, 0                                            // 000000005468: BF108080
	s_setvskip s20, 3                                          // 00000000546C: BF108314
	global_atomic_pk_add_bf16 v86, v71, s[8:9] offset:256      // 000000005470: DD488100 00084756
	s_setvskip 0, 0                                            // 000000005478: BF108080
	s_add_u32 s8, s59, s8                                      // 00000000547C: 8008083B
	s_addc_u32 s9, 0, s9                                       // 000000005480: 82090980
	s_addk_i32 s80, 0x100                                      // 000000005484: B7500100
	s_cmp_lt_i32 s80, s81                                      // 000000005488: BF045150
	s_cbranch_scc0 label_0CF5                                  // 00000000548C: BF840351
	s_waitcnt vmcnt(29) lgkmcnt(0)                             // 000000005490: BF8C407D
	s_barrier                                                  // 000000005494: BF8A0000
	v_mfma_f32_16x16x128_f8f6f4 v[160:163], a[128:135], v[128:135], 0// 000000005498: D3AD00A0 0A030180
	ds_read_b32 v64, v5 offset:11776                           // 0000000054A0: D86C2E00 40000005
	ds_read_b32 v65, v5 offset:16128                           // 0000000054A8: D86C3F00 41000005
	ds_read_b32 v66, v5 offset:11784                           // 0000000054B0: D86C2E08 42000005
	ds_read_b32 v67, v5 offset:16136                           // 0000000054B8: D86C3F08 43000005
	ds_read_b32 v68, v5 offset:11808                           // 0000000054C0: D86C2E20 44000005
	ds_read_b32 v69, v5 offset:16160                           // 0000000054C8: D86C3F20 45000005
	ds_read_b32 v70, v5 offset:11816                           // 0000000054D0: D86C2E28 46000005
	ds_read_b32 v71, v5 offset:16168                           // 0000000054D8: D86C3F28 47000005
	v_mfma_f32_16x16x128_f8f6f4 v[164:167], a[136:143], v[128:135], 0// 0000000054E0: D3AD00A4 0A030188
	buffer_load_dword v20, v6, s[16:19], 0 offen               // 0000000054E8: E0501000 80041406
	buffer_load_dwordx4 a[64:67], v37, s[12:15], 0 offen       // 0000000054F0: E05C1000 80834025
	buffer_load_dwordx4 a[68:71], v37, s[12:15], 0 offen offset:1024// 0000000054F8: E05C1400 80834425
	buffer_load_dwordx4 a[72:75], v38, s[12:15], 0 offen       // 000000005500: E05C1000 80834826
	buffer_load_dwordx4 a[76:79], v38, s[12:15], 0 offen offset:1024// 000000005508: E05C1400 80834C26
	s_waitcnt vmcnt(29)                                        // 000000005510: BF8C4F7D
	v_mfma_f32_16x16x128_f8f6f4 v[168:171], a[144:151], v[128:135], 0// 000000005514: D3AD00A8 0A030190
	v_mfma_f32_16x16x128_f8f6f4 v[172:175], a[152:159], v[128:135], 0// 00000000551C: D3AD00AC 0A030198
	buffer_load_dwordx4 a[80:83], v39, s[12:15], 0 offen       // 000000005524: E05C1000 80835027
	buffer_load_dwordx4 a[84:87], v39, s[12:15], 0 offen offset:1024// 00000000552C: E05C1400 80835427
	buffer_load_dwordx4 a[88:91], v40, s[12:15], 0 offen       // 000000005534: E05C1000 80835828
	buffer_load_dwordx4 a[92:95], v40, s[12:15], 0 offen offset:1024// 00000000553C: E05C1400 80835C28
	s_add_u32 s12, s78, s12                                    // 000000005544: 800C0C4E
	s_addc_u32 s13, 0, s13                                     // 000000005548: 820D0D80
	v_mul_f32_dpp v46, v21, v28 row_newbcast:0 row_mask:0xf bank_mask:0xf// 00000000554C: 0A5C38FA FF015015
	v_mov_b32_e32 v47, v46                                     // 000000005554: 7E5E032E
	v_pk_mul_f32 v[160:161], v[46:47], v[160:161]              // 000000005558: D3B140A0 1803412E
	v_pk_mul_f32 v[162:163], v[46:47], v[162:163]              // 000000005560: D3B140A2 1803452E
	v_pk_mul_f32 v[164:165], v[46:47], v[164:165]              // 000000005568: D3B140A4 1803492E
	v_pk_mul_f32 v[166:167], v[46:47], v[166:167]              // 000000005570: D3B140A6 18034D2E
	v_mul_f32_dpp v46, v21, v28 row_newbcast:1 row_mask:0xf bank_mask:0xf// 000000005578: 0A5C38FA FF015115
	v_mov_b32_e32 v47, v46                                     // 000000005580: 7E5E032E
	v_pk_mul_f32 v[168:169], v[46:47], v[168:169]              // 000000005584: D3B140A8 1803512E
	v_pk_mul_f32 v[170:171], v[46:47], v[170:171]              // 00000000558C: D3B140AA 1803552E
	v_pk_mul_f32 v[172:173], v[46:47], v[172:173]              // 000000005594: D3B140AC 1803592E
	v_pk_mul_f32 v[174:175], v[46:47], v[174:175]              // 00000000559C: D3B140AE 18035D2E
	s_waitcnt vmcnt(29)                                        // 0000000055A4: BF8C4F7D
	v_mfma_f32_16x16x128_f8f6f4 v[144:147], a[160:167], v[136:143], 0// 0000000055A8: D3AD0090 0A0311A0
	ds_write_b64 v4, v[176:177] offset:29184                   // 0000000055B0: D89A7200 0000B004
	ds_write_b64 v4, v[178:179] offset:31360                   // 0000000055B8: D89A7A80 0000B204
	ds_write_b64 v4, v[180:181] offset:33536                   // 0000000055C0: D89A8300 0000B404
	ds_write_b64 v4, v[182:183] offset:35712                   // 0000000055C8: D89A8B80 0000B604
	v_mfma_f32_16x16x128_f8f6f4 v[148:151], a[168:175], v[136:143], 0// 0000000055D0: D3AD0094 0A0311A8
	buffer_load_dwordx4 a[96:99], v37, s[12:15], 0 offen       // 0000000055D8: E05C1000 80836025
	buffer_load_dwordx4 a[100:103], v37, s[12:15], 0 offen offset:1024// 0000000055E0: E05C1400 80836425
	buffer_load_dwordx4 a[104:107], v38, s[12:15], 0 offen     // 0000000055E8: E05C1000 80836826
	buffer_load_dwordx4 a[108:111], v38, s[12:15], 0 offen offset:1024// 0000000055F0: E05C1400 80836C26
	s_waitcnt vmcnt(29)                                        // 0000000055F8: BF8C4F7D
	v_mfma_f32_16x16x128_f8f6f4 v[152:155], a[176:183], v[136:143], 0// 0000000055FC: D3AD0098 0A0311B0
	v_mfma_f32_16x16x128_f8f6f4 v[156:159], a[184:191], v[136:143], 0// 000000005604: D3AD009C 0A0311B8
	buffer_load_dwordx4 a[112:115], v39, s[12:15], 0 offen     // 00000000560C: E05C1000 80837027
	buffer_load_dwordx4 a[116:119], v39, s[12:15], 0 offen offset:1024// 000000005614: E05C1400 80837427
	buffer_load_dwordx4 a[120:123], v40, s[12:15], 0 offen     // 00000000561C: E05C1000 80837828
	buffer_load_dwordx4 a[124:127], v40, s[12:15], 0 offen offset:1024// 000000005624: E05C1400 80837C28
	v_mul_f32_dpp v46, v21, v29 row_newbcast:2 row_mask:0xf bank_mask:0xf// 00000000562C: 0A5C3AFA FF015215
	v_mov_b32_e32 v47, v46                                     // 000000005634: 7E5E032E
	v_pk_fma_f32 v[160:161], v[144:145], v[46:47], v[160:161]  // 000000005638: D3B040A0 1E825D90
	v_pk_fma_f32 v[162:163], v[146:147], v[46:47], v[162:163]  // 000000005640: D3B040A2 1E8A5D92
	v_pk_fma_f32 v[164:165], v[148:149], v[46:47], v[164:165]  // 000000005648: D3B040A4 1E925D94
	v_pk_fma_f32 v[166:167], v[150:151], v[46:47], v[166:167]  // 000000005650: D3B040A6 1E9A5D96
	v_mul_f32_dpp v46, v21, v29 row_newbcast:3 row_mask:0xf bank_mask:0xf// 000000005658: 0A5C3AFA FF015315
	v_mov_b32_e32 v47, v46                                     // 000000005660: 7E5E032E
	v_pk_fma_f32 v[168:169], v[152:153], v[46:47], v[168:169]  // 000000005664: D3B040A8 1EA25D98
	v_pk_fma_f32 v[170:171], v[154:155], v[46:47], v[170:171]  // 00000000566C: D3B040AA 1EAA5D9A
	v_pk_fma_f32 v[172:173], v[156:157], v[46:47], v[172:173]  // 000000005674: D3B040AC 1EB25D9C
	v_pk_fma_f32 v[174:175], v[158:159], v[46:47], v[174:175]  // 00000000567C: D3B040AE 1EBA5D9E
	s_add_u32 s60, 0x300, s80                                  // 000000005684: 803C50FF 00000300
	s_cmp_lt_u32 s60, s81                                      // 00000000568C: BF0A513C
	s_cselect_b32 s56, s56, 0                                  // 000000005690: 85388038
	s_cselect_b32 s78, s78, 0                                  // 000000005694: 854E804E
	s_cselect_b32 s79, s79, 0                                  // 000000005698: 854F804F
	s_add_u32 s12, s56, s12                                    // 00000000569C: 800C0C38
	s_addc_u32 s13, 0, s13                                     // 0000000056A0: 820D0D80
	s_add_u32 s16, s79, s16                                    // 0000000056A4: 8010104F
	s_addc_u32 s17, 0, s17                                     // 0000000056A8: 82111180
	v_mov_b32_e32 v46, v23                                     // 0000000056AC: 7E5C0317
	v_mov_b32_e32 v47, v23                                     // 0000000056B0: 7E5E0317
	v_pk_mul_f32 v[160:161], v[46:47], v[160:161]              // 0000000056B4: D3B140A0 1803412E
	v_pk_mul_f32 v[162:163], v[46:47], v[162:163]              // 0000000056BC: D3B140A2 1803452E
	v_pk_mul_f32 v[164:165], v[46:47], v[164:165]              // 0000000056C4: D3B140A4 1803492E
	v_pk_mul_f32 v[166:167], v[46:47], v[166:167]              // 0000000056CC: D3B140A6 18034D2E
	v_pk_mul_f32 v[168:169], v[46:47], v[168:169]              // 0000000056D4: D3B140A8 1803512E
	v_pk_mul_f32 v[170:171], v[46:47], v[170:171]              // 0000000056DC: D3B140AA 1803552E
	v_pk_mul_f32 v[172:173], v[46:47], v[172:173]              // 0000000056E4: D3B140AC 1803592E
	v_pk_mul_f32 v[174:175], v[46:47], v[174:175]              // 0000000056EC: D3B140AE 18035D2E
	v_cvt_pk_bf16_f32 v160, v160, v161                         // 0000000056F4: D26800A0 000343A0
	v_cvt_pk_bf16_f32 v161, v162, v163                         // 0000000056FC: D26800A1 000347A2
	v_cvt_pk_bf16_f32 v162, v164, v165                         // 000000005704: D26800A2 00034BA4
	v_cvt_pk_bf16_f32 v163, v166, v167                         // 00000000570C: D26800A3 00034FA6
	v_cvt_pk_bf16_f32 v164, v168, v169                         // 000000005714: D26800A4 000353A8
	v_cvt_pk_bf16_f32 v165, v170, v171                         // 00000000571C: D26800A5 000357AA
	v_cvt_pk_bf16_f32 v166, v172, v173                         // 000000005724: D26800A6 00035BAC
	v_cvt_pk_bf16_f32 v167, v174, v175                         // 00000000572C: D26800A7 00035FAE
	s_cmp_ge_u32 s80, 0x200                                    // 000000005734: BF09FF50 00000200
	s_cselect_b32 s59, 0x200, s59                              // 00000000573C: 853B3BFF 00000200
	s_waitcnt lgkmcnt(0)                                       // 000000005744: BF8CC07F
	s_barrier                                                  // 000000005748: BF8A0000
	s_setvskip s20, 0                                          // 00000000574C: BF108014
	global_atomic_pk_add_bf16 v80, v64, s[8:9]                 // 000000005750: DD488000 00084050
	s_setvskip 0, 0                                            // 000000005758: BF108080
	s_setvskip s20, 0                                          // 00000000575C: BF108014
	global_atomic_pk_add_bf16 v80, v65, s[8:9] offset:256      // 000000005760: DD488100 00084150
	s_setvskip 0, 0                                            // 000000005768: BF108080
	s_setvskip s20, 1                                          // 00000000576C: BF108114
	global_atomic_pk_add_bf16 v82, v66, s[8:9]                 // 000000005770: DD488000 00084252
	s_setvskip 0, 0                                            // 000000005778: BF108080
	s_setvskip s20, 1                                          // 00000000577C: BF108114
	global_atomic_pk_add_bf16 v82, v67, s[8:9] offset:256      // 000000005780: DD488100 00084352
	s_setvskip 0, 0                                            // 000000005788: BF108080
	s_setvskip s20, 2                                          // 00000000578C: BF108214
	global_atomic_pk_add_bf16 v84, v68, s[8:9]                 // 000000005790: DD488000 00084454
	s_setvskip 0, 0                                            // 000000005798: BF108080
	s_setvskip s20, 2                                          // 00000000579C: BF108214
	global_atomic_pk_add_bf16 v84, v69, s[8:9] offset:256      // 0000000057A0: DD488100 00084554
	s_setvskip 0, 0                                            // 0000000057A8: BF108080
	s_setvskip s20, 3                                          // 0000000057AC: BF108314
	global_atomic_pk_add_bf16 v86, v70, s[8:9]                 // 0000000057B0: DD488000 00084656
	s_setvskip 0, 0                                            // 0000000057B8: BF108080
	s_setvskip s20, 3                                          // 0000000057BC: BF108314
	global_atomic_pk_add_bf16 v86, v71, s[8:9] offset:256      // 0000000057C0: DD488100 00084756
	s_setvskip 0, 0                                            // 0000000057C8: BF108080
	s_add_u32 s8, s59, s8                                      // 0000000057CC: 8008083B
	s_addc_u32 s9, 0, s9                                       // 0000000057D0: 82090980
	s_addk_i32 s80, 0x100                                      // 0000000057D4: B7500100
	s_cmp_lt_i32 s80, s81                                      // 0000000057D8: BF045150
	s_cbranch_scc0 label_0CF5                                  // 0000000057DC: BF84027D
	s_waitcnt vmcnt(29) lgkmcnt(0)                             // 0000000057E0: BF8C407D
	s_barrier                                                  // 0000000057E4: BF8A0000
	v_mfma_f32_16x16x128_f8f6f4 v[176:179], a[0:7], v[128:135], 0// 0000000057E8: D3AD00B0 0A030100
	ds_read_b32 v64, v5 offset:29184                           // 0000000057F0: D86C7200 40000005
	ds_read_b32 v65, v5 offset:33536                           // 0000000057F8: D86C8300 41000005
	ds_read_b32 v66, v5 offset:29192                           // 000000005800: D86C7208 42000005
	ds_read_b32 v67, v5 offset:33544                           // 000000005808: D86C8308 43000005
	ds_read_b32 v68, v5 offset:29216                           // 000000005810: D86C7220 44000005
	ds_read_b32 v69, v5 offset:33568                           // 000000005818: D86C8320 45000005
	ds_read_b32 v70, v5 offset:29224                           // 000000005820: D86C7228 46000005
	ds_read_b32 v71, v5 offset:33576                           // 000000005828: D86C8328 47000005
	v_mfma_f32_16x16x128_f8f6f4 v[180:183], a[8:15], v[128:135], 0// 000000005830: D3AD00B4 0A030108
	buffer_load_dword v21, v6, s[16:19], 0 offen               // 000000005838: E0501000 80041506
	buffer_load_dwordx4 a[128:131], v37, s[12:15], 0 offen     // 000000005840: E05C1000 80838025
	buffer_load_dwordx4 a[132:135], v37, s[12:15], 0 offen offset:1024// 000000005848: E05C1400 80838425
	buffer_load_dwordx4 a[136:139], v38, s[12:15], 0 offen     // 000000005850: E05C1000 80838826
	buffer_load_dwordx4 a[140:143], v38, s[12:15], 0 offen offset:1024// 000000005858: E05C1400 80838C26
	s_waitcnt vmcnt(29)                                        // 000000005860: BF8C4F7D
	v_mfma_f32_16x16x128_f8f6f4 v[184:187], a[16:23], v[128:135], 0// 000000005864: D3AD00B8 0A030110
	v_mfma_f32_16x16x128_f8f6f4 v[188:191], a[24:31], v[128:135], 0// 00000000586C: D3AD00BC 0A030118
	buffer_load_dwordx4 a[144:147], v39, s[12:15], 0 offen     // 000000005874: E05C1000 80839027
	buffer_load_dwordx4 a[148:151], v39, s[12:15], 0 offen offset:1024// 00000000587C: E05C1400 80839427
	buffer_load_dwordx4 a[152:155], v40, s[12:15], 0 offen     // 000000005884: E05C1000 80839828
	buffer_load_dwordx4 a[156:159], v40, s[12:15], 0 offen offset:1024// 00000000588C: E05C1400 80839C28
	s_add_u32 s12, s78, s12                                    // 000000005894: 800C0C4E
	s_addc_u32 s13, 0, s13                                     // 000000005898: 820D0D80
	v_mul_f32_dpp v46, v19, v28 row_newbcast:0 row_mask:0xf bank_mask:0xf// 00000000589C: 0A5C38FA FF015013
	v_mov_b32_e32 v47, v46                                     // 0000000058A4: 7E5E032E
	v_pk_mul_f32 v[176:177], v[46:47], v[176:177]              // 0000000058A8: D3B140B0 1803612E
	v_pk_mul_f32 v[178:179], v[46:47], v[178:179]              // 0000000058B0: D3B140B2 1803652E
	v_pk_mul_f32 v[180:181], v[46:47], v[180:181]              // 0000000058B8: D3B140B4 1803692E
	v_pk_mul_f32 v[182:183], v[46:47], v[182:183]              // 0000000058C0: D3B140B6 18036D2E
	v_mul_f32_dpp v46, v19, v28 row_newbcast:1 row_mask:0xf bank_mask:0xf// 0000000058C8: 0A5C38FA FF015113
	v_mov_b32_e32 v47, v46                                     // 0000000058D0: 7E5E032E
	v_pk_mul_f32 v[184:185], v[46:47], v[184:185]              // 0000000058D4: D3B140B8 1803712E
	v_pk_mul_f32 v[186:187], v[46:47], v[186:187]              // 0000000058DC: D3B140BA 1803752E
	v_pk_mul_f32 v[188:189], v[46:47], v[188:189]              // 0000000058E4: D3B140BC 1803792E
	v_pk_mul_f32 v[190:191], v[46:47], v[190:191]              // 0000000058EC: D3B140BE 18037D2E
	s_waitcnt vmcnt(29)                                        // 0000000058F4: BF8C4F7D
	v_mfma_f32_16x16x128_f8f6f4 v[144:147], a[32:39], v[136:143], 0// 0000000058F8: D3AD0090 0A031120
	ds_write_b64 v4, v[160:161] offset:11776                   // 000000005900: D89A2E00 0000A004
	ds_write_b64 v4, v[162:163] offset:13952                   // 000000005908: D89A3680 0000A204
	ds_write_b64 v4, v[164:165] offset:16128                   // 000000005910: D89A3F00 0000A404
	ds_write_b64 v4, v[166:167] offset:18304                   // 000000005918: D89A4780 0000A604
	v_mfma_f32_16x16x128_f8f6f4 v[148:151], a[40:47], v[136:143], 0// 000000005920: D3AD0094 0A031128
	buffer_load_dwordx4 a[160:163], v37, s[12:15], 0 offen     // 000000005928: E05C1000 8083A025
	buffer_load_dwordx4 a[164:167], v37, s[12:15], 0 offen offset:1024// 000000005930: E05C1400 8083A425
	buffer_load_dwordx4 a[168:171], v38, s[12:15], 0 offen     // 000000005938: E05C1000 8083A826
	buffer_load_dwordx4 a[172:175], v38, s[12:15], 0 offen offset:1024// 000000005940: E05C1400 8083AC26
	s_waitcnt vmcnt(29)                                        // 000000005948: BF8C4F7D
	v_mfma_f32_16x16x128_f8f6f4 v[152:155], a[48:55], v[136:143], 0// 00000000594C: D3AD0098 0A031130
	v_mfma_f32_16x16x128_f8f6f4 v[156:159], a[56:63], v[136:143], 0// 000000005954: D3AD009C 0A031138
	buffer_load_dwordx4 a[176:179], v39, s[12:15], 0 offen     // 00000000595C: E05C1000 8083B027
	buffer_load_dwordx4 a[180:183], v39, s[12:15], 0 offen offset:1024// 000000005964: E05C1400 8083B427
	buffer_load_dwordx4 a[184:187], v40, s[12:15], 0 offen     // 00000000596C: E05C1000 8083B828
	buffer_load_dwordx4 a[188:191], v40, s[12:15], 0 offen offset:1024// 000000005974: E05C1400 8083BC28
	v_mul_f32_dpp v46, v19, v29 row_newbcast:2 row_mask:0xf bank_mask:0xf// 00000000597C: 0A5C3AFA FF015213
	v_mov_b32_e32 v47, v46                                     // 000000005984: 7E5E032E
	v_pk_fma_f32 v[176:177], v[144:145], v[46:47], v[176:177]  // 000000005988: D3B040B0 1EC25D90
	v_pk_fma_f32 v[178:179], v[146:147], v[46:47], v[178:179]  // 000000005990: D3B040B2 1ECA5D92
	v_pk_fma_f32 v[180:181], v[148:149], v[46:47], v[180:181]  // 000000005998: D3B040B4 1ED25D94
	v_pk_fma_f32 v[182:183], v[150:151], v[46:47], v[182:183]  // 0000000059A0: D3B040B6 1EDA5D96
	v_mul_f32_dpp v46, v19, v29 row_newbcast:3 row_mask:0xf bank_mask:0xf// 0000000059A8: 0A5C3AFA FF015313
	v_mov_b32_e32 v47, v46                                     // 0000000059B0: 7E5E032E
	v_pk_fma_f32 v[184:185], v[152:153], v[46:47], v[184:185]  // 0000000059B4: D3B040B8 1EE25D98
	v_pk_fma_f32 v[186:187], v[154:155], v[46:47], v[186:187]  // 0000000059BC: D3B040BA 1EEA5D9A
	v_pk_fma_f32 v[188:189], v[156:157], v[46:47], v[188:189]  // 0000000059C4: D3B040BC 1EF25D9C
	v_pk_fma_f32 v[190:191], v[158:159], v[46:47], v[190:191]  // 0000000059CC: D3B040BE 1EFA5D9E
	s_add_u32 s60, 0x300, s80                                  // 0000000059D4: 803C50FF 00000300
	s_cmp_lt_u32 s60, s81                                      // 0000000059DC: BF0A513C
	s_cselect_b32 s56, s56, 0                                  // 0000000059E0: 85388038
	s_cselect_b32 s78, s78, 0                                  // 0000000059E4: 854E804E
	s_cselect_b32 s79, s79, 0                                  // 0000000059E8: 854F804F
	s_add_u32 s12, s56, s12                                    // 0000000059EC: 800C0C38
	s_addc_u32 s13, 0, s13                                     // 0000000059F0: 820D0D80
	s_add_u32 s16, s79, s16                                    // 0000000059F4: 8010104F
	s_addc_u32 s17, 0, s17                                     // 0000000059F8: 82111180
	v_mov_b32_e32 v46, v23                                     // 0000000059FC: 7E5C0317
	v_mov_b32_e32 v47, v23                                     // 000000005A00: 7E5E0317
	v_pk_mul_f32 v[176:177], v[46:47], v[176:177]              // 000000005A04: D3B140B0 1803612E
	v_pk_mul_f32 v[178:179], v[46:47], v[178:179]              // 000000005A0C: D3B140B2 1803652E
	v_pk_mul_f32 v[180:181], v[46:47], v[180:181]              // 000000005A14: D3B140B4 1803692E
	v_pk_mul_f32 v[182:183], v[46:47], v[182:183]              // 000000005A1C: D3B140B6 18036D2E
	v_pk_mul_f32 v[184:185], v[46:47], v[184:185]              // 000000005A24: D3B140B8 1803712E
	v_pk_mul_f32 v[186:187], v[46:47], v[186:187]              // 000000005A2C: D3B140BA 1803752E
	v_pk_mul_f32 v[188:189], v[46:47], v[188:189]              // 000000005A34: D3B140BC 1803792E
	v_pk_mul_f32 v[190:191], v[46:47], v[190:191]              // 000000005A3C: D3B140BE 18037D2E
	v_cvt_pk_bf16_f32 v176, v176, v177                         // 000000005A44: D26800B0 000363B0
	v_cvt_pk_bf16_f32 v177, v178, v179                         // 000000005A4C: D26800B1 000367B2
	v_cvt_pk_bf16_f32 v178, v180, v181                         // 000000005A54: D26800B2 00036BB4
	v_cvt_pk_bf16_f32 v179, v182, v183                         // 000000005A5C: D26800B3 00036FB6
	v_cvt_pk_bf16_f32 v180, v184, v185                         // 000000005A64: D26800B4 000373B8
	v_cvt_pk_bf16_f32 v181, v186, v187                         // 000000005A6C: D26800B5 000377BA
	v_cvt_pk_bf16_f32 v182, v188, v189                         // 000000005A74: D26800B6 00037BBC
	v_cvt_pk_bf16_f32 v183, v190, v191                         // 000000005A7C: D26800B7 00037FBE
	s_cmp_ge_u32 s80, 0x200                                    // 000000005A84: BF09FF50 00000200
	s_cselect_b32 s59, 0x200, s59                              // 000000005A8C: 853B3BFF 00000200
	s_waitcnt lgkmcnt(0)                                       // 000000005A94: BF8CC07F
	s_barrier                                                  // 000000005A98: BF8A0000
	s_setvskip s20, 0                                          // 000000005A9C: BF108014
	global_atomic_pk_add_bf16 v80, v64, s[8:9]                 // 000000005AA0: DD488000 00084050
	s_setvskip 0, 0                                            // 000000005AA8: BF108080
	s_setvskip s20, 0                                          // 000000005AAC: BF108014
	global_atomic_pk_add_bf16 v80, v65, s[8:9] offset:256      // 000000005AB0: DD488100 00084150
	s_setvskip 0, 0                                            // 000000005AB8: BF108080
	s_setvskip s20, 1                                          // 000000005ABC: BF108114
	global_atomic_pk_add_bf16 v82, v66, s[8:9]                 // 000000005AC0: DD488000 00084252
	s_setvskip 0, 0                                            // 000000005AC8: BF108080
	s_setvskip s20, 1                                          // 000000005ACC: BF108114
	global_atomic_pk_add_bf16 v82, v67, s[8:9] offset:256      // 000000005AD0: DD488100 00084352
	s_setvskip 0, 0                                            // 000000005AD8: BF108080
	s_setvskip s20, 2                                          // 000000005ADC: BF108214
	global_atomic_pk_add_bf16 v84, v68, s[8:9]                 // 000000005AE0: DD488000 00084454
	s_setvskip 0, 0                                            // 000000005AE8: BF108080
	s_setvskip s20, 2                                          // 000000005AEC: BF108214
	global_atomic_pk_add_bf16 v84, v69, s[8:9] offset:256      // 000000005AF0: DD488100 00084554
	s_setvskip 0, 0                                            // 000000005AF8: BF108080
	s_setvskip s20, 3                                          // 000000005AFC: BF108314
	global_atomic_pk_add_bf16 v86, v70, s[8:9]                 // 000000005B00: DD488000 00084656
	s_setvskip 0, 0                                            // 000000005B08: BF108080
	s_setvskip s20, 3                                          // 000000005B0C: BF108314
	global_atomic_pk_add_bf16 v86, v71, s[8:9] offset:256      // 000000005B10: DD488100 00084756
	s_setvskip 0, 0                                            // 000000005B18: BF108080
	s_add_u32 s8, s59, s8                                      // 000000005B1C: 8008083B
	s_addc_u32 s9, 0, s9                                       // 000000005B20: 82090980
	s_addk_i32 s80, 0x100                                      // 000000005B24: B7500100
	s_cmp_lt_i32 s80, s81                                      // 000000005B28: BF045150
	s_cbranch_scc0 label_0CF5                                  // 000000005B2C: BF8401A9
	s_waitcnt vmcnt(29) lgkmcnt(0)                             // 000000005B30: BF8C407D
	s_barrier                                                  // 000000005B34: BF8A0000
	v_mfma_f32_16x16x128_f8f6f4 v[160:163], a[64:71], v[128:135], 0// 000000005B38: D3AD00A0 0A030140
	ds_read_b32 v64, v5 offset:11776                           // 000000005B40: D86C2E00 40000005
	ds_read_b32 v65, v5 offset:16128                           // 000000005B48: D86C3F00 41000005
	ds_read_b32 v66, v5 offset:11784                           // 000000005B50: D86C2E08 42000005
	ds_read_b32 v67, v5 offset:16136                           // 000000005B58: D86C3F08 43000005
	ds_read_b32 v68, v5 offset:11808                           // 000000005B60: D86C2E20 44000005
	ds_read_b32 v69, v5 offset:16160                           // 000000005B68: D86C3F20 45000005
	ds_read_b32 v70, v5 offset:11816                           // 000000005B70: D86C2E28 46000005
	ds_read_b32 v71, v5 offset:16168                           // 000000005B78: D86C3F28 47000005
	v_mfma_f32_16x16x128_f8f6f4 v[164:167], a[72:79], v[128:135], 0// 000000005B80: D3AD00A4 0A030148
	buffer_load_dword v19, v6, s[16:19], 0 offen               // 000000005B88: E0501000 80041306
	buffer_load_dwordx4 a[0:3], v37, s[12:15], 0 offen         // 000000005B90: E05C1000 80830025
	buffer_load_dwordx4 a[4:7], v37, s[12:15], 0 offen offset:1024// 000000005B98: E05C1400 80830425
	buffer_load_dwordx4 a[8:11], v38, s[12:15], 0 offen        // 000000005BA0: E05C1000 80830826
	buffer_load_dwordx4 a[12:15], v38, s[12:15], 0 offen offset:1024// 000000005BA8: E05C1400 80830C26
	s_waitcnt vmcnt(29)                                        // 000000005BB0: BF8C4F7D
	v_mfma_f32_16x16x128_f8f6f4 v[168:171], a[80:87], v[128:135], 0// 000000005BB4: D3AD00A8 0A030150
	v_mfma_f32_16x16x128_f8f6f4 v[172:175], a[88:95], v[128:135], 0// 000000005BBC: D3AD00AC 0A030158
	buffer_load_dwordx4 a[16:19], v39, s[12:15], 0 offen       // 000000005BC4: E05C1000 80831027
	buffer_load_dwordx4 a[20:23], v39, s[12:15], 0 offen offset:1024// 000000005BCC: E05C1400 80831427
	buffer_load_dwordx4 a[24:27], v40, s[12:15], 0 offen       // 000000005BD4: E05C1000 80831828
	buffer_load_dwordx4 a[28:31], v40, s[12:15], 0 offen offset:1024// 000000005BDC: E05C1400 80831C28
	s_add_u32 s12, s78, s12                                    // 000000005BE4: 800C0C4E
	s_addc_u32 s13, 0, s13                                     // 000000005BE8: 820D0D80
	v_mul_f32_dpp v46, v20, v28 row_newbcast:0 row_mask:0xf bank_mask:0xf// 000000005BEC: 0A5C38FA FF015014
	v_mov_b32_e32 v47, v46                                     // 000000005BF4: 7E5E032E
	v_pk_mul_f32 v[160:161], v[46:47], v[160:161]              // 000000005BF8: D3B140A0 1803412E
	v_pk_mul_f32 v[162:163], v[46:47], v[162:163]              // 000000005C00: D3B140A2 1803452E
	v_pk_mul_f32 v[164:165], v[46:47], v[164:165]              // 000000005C08: D3B140A4 1803492E
	v_pk_mul_f32 v[166:167], v[46:47], v[166:167]              // 000000005C10: D3B140A6 18034D2E
	v_mul_f32_dpp v46, v20, v28 row_newbcast:1 row_mask:0xf bank_mask:0xf// 000000005C18: 0A5C38FA FF015114
	v_mov_b32_e32 v47, v46                                     // 000000005C20: 7E5E032E
	v_pk_mul_f32 v[168:169], v[46:47], v[168:169]              // 000000005C24: D3B140A8 1803512E
	v_pk_mul_f32 v[170:171], v[46:47], v[170:171]              // 000000005C2C: D3B140AA 1803552E
	v_pk_mul_f32 v[172:173], v[46:47], v[172:173]              // 000000005C34: D3B140AC 1803592E
	v_pk_mul_f32 v[174:175], v[46:47], v[174:175]              // 000000005C3C: D3B140AE 18035D2E
	s_waitcnt vmcnt(29)                                        // 000000005C44: BF8C4F7D
	v_mfma_f32_16x16x128_f8f6f4 v[144:147], a[96:103], v[136:143], 0// 000000005C48: D3AD0090 0A031160
	ds_write_b64 v4, v[176:177] offset:29184                   // 000000005C50: D89A7200 0000B004
	ds_write_b64 v4, v[178:179] offset:31360                   // 000000005C58: D89A7A80 0000B204
	ds_write_b64 v4, v[180:181] offset:33536                   // 000000005C60: D89A8300 0000B404
	ds_write_b64 v4, v[182:183] offset:35712                   // 000000005C68: D89A8B80 0000B604
	v_mfma_f32_16x16x128_f8f6f4 v[148:151], a[104:111], v[136:143], 0// 000000005C70: D3AD0094 0A031168
	buffer_load_dwordx4 a[32:35], v37, s[12:15], 0 offen       // 000000005C78: E05C1000 80832025
	buffer_load_dwordx4 a[36:39], v37, s[12:15], 0 offen offset:1024// 000000005C80: E05C1400 80832425
	buffer_load_dwordx4 a[40:43], v38, s[12:15], 0 offen       // 000000005C88: E05C1000 80832826
	buffer_load_dwordx4 a[44:47], v38, s[12:15], 0 offen offset:1024// 000000005C90: E05C1400 80832C26
	s_waitcnt vmcnt(29)                                        // 000000005C98: BF8C4F7D
	v_mfma_f32_16x16x128_f8f6f4 v[152:155], a[112:119], v[136:143], 0// 000000005C9C: D3AD0098 0A031170
	v_mfma_f32_16x16x128_f8f6f4 v[156:159], a[120:127], v[136:143], 0// 000000005CA4: D3AD009C 0A031178
	buffer_load_dwordx4 a[48:51], v39, s[12:15], 0 offen       // 000000005CAC: E05C1000 80833027
	buffer_load_dwordx4 a[52:55], v39, s[12:15], 0 offen offset:1024// 000000005CB4: E05C1400 80833427
	buffer_load_dwordx4 a[56:59], v40, s[12:15], 0 offen       // 000000005CBC: E05C1000 80833828
	buffer_load_dwordx4 a[60:63], v40, s[12:15], 0 offen offset:1024// 000000005CC4: E05C1400 80833C28
	v_mul_f32_dpp v46, v20, v29 row_newbcast:2 row_mask:0xf bank_mask:0xf// 000000005CCC: 0A5C3AFA FF015214
	v_mov_b32_e32 v47, v46                                     // 000000005CD4: 7E5E032E
	v_pk_fma_f32 v[160:161], v[144:145], v[46:47], v[160:161]  // 000000005CD8: D3B040A0 1E825D90
	v_pk_fma_f32 v[162:163], v[146:147], v[46:47], v[162:163]  // 000000005CE0: D3B040A2 1E8A5D92
	v_pk_fma_f32 v[164:165], v[148:149], v[46:47], v[164:165]  // 000000005CE8: D3B040A4 1E925D94
	v_pk_fma_f32 v[166:167], v[150:151], v[46:47], v[166:167]  // 000000005CF0: D3B040A6 1E9A5D96
	v_mul_f32_dpp v46, v20, v29 row_newbcast:3 row_mask:0xf bank_mask:0xf// 000000005CF8: 0A5C3AFA FF015314
	v_mov_b32_e32 v47, v46                                     // 000000005D00: 7E5E032E
	v_pk_fma_f32 v[168:169], v[152:153], v[46:47], v[168:169]  // 000000005D04: D3B040A8 1EA25D98
	v_pk_fma_f32 v[170:171], v[154:155], v[46:47], v[170:171]  // 000000005D0C: D3B040AA 1EAA5D9A
	v_pk_fma_f32 v[172:173], v[156:157], v[46:47], v[172:173]  // 000000005D14: D3B040AC 1EB25D9C
	v_pk_fma_f32 v[174:175], v[158:159], v[46:47], v[174:175]  // 000000005D1C: D3B040AE 1EBA5D9E
	s_add_u32 s60, 0x300, s80                                  // 000000005D24: 803C50FF 00000300
	s_cmp_lt_u32 s60, s81                                      // 000000005D2C: BF0A513C
	s_cselect_b32 s56, s56, 0                                  // 000000005D30: 85388038
	s_cselect_b32 s78, s78, 0                                  // 000000005D34: 854E804E
	s_cselect_b32 s79, s79, 0                                  // 000000005D38: 854F804F
	s_add_u32 s12, s56, s12                                    // 000000005D3C: 800C0C38
	s_addc_u32 s13, 0, s13                                     // 000000005D40: 820D0D80
	s_add_u32 s16, s79, s16                                    // 000000005D44: 8010104F
	s_addc_u32 s17, 0, s17                                     // 000000005D48: 82111180
	v_mov_b32_e32 v46, v23                                     // 000000005D4C: 7E5C0317
	v_mov_b32_e32 v47, v23                                     // 000000005D50: 7E5E0317
	v_pk_mul_f32 v[160:161], v[46:47], v[160:161]              // 000000005D54: D3B140A0 1803412E
	v_pk_mul_f32 v[162:163], v[46:47], v[162:163]              // 000000005D5C: D3B140A2 1803452E
	v_pk_mul_f32 v[164:165], v[46:47], v[164:165]              // 000000005D64: D3B140A4 1803492E
	v_pk_mul_f32 v[166:167], v[46:47], v[166:167]              // 000000005D6C: D3B140A6 18034D2E
	v_pk_mul_f32 v[168:169], v[46:47], v[168:169]              // 000000005D74: D3B140A8 1803512E
	v_pk_mul_f32 v[170:171], v[46:47], v[170:171]              // 000000005D7C: D3B140AA 1803552E
	v_pk_mul_f32 v[172:173], v[46:47], v[172:173]              // 000000005D84: D3B140AC 1803592E
	v_pk_mul_f32 v[174:175], v[46:47], v[174:175]              // 000000005D8C: D3B140AE 18035D2E
	v_cvt_pk_bf16_f32 v160, v160, v161                         // 000000005D94: D26800A0 000343A0
	v_cvt_pk_bf16_f32 v161, v162, v163                         // 000000005D9C: D26800A1 000347A2
	v_cvt_pk_bf16_f32 v162, v164, v165                         // 000000005DA4: D26800A2 00034BA4
	v_cvt_pk_bf16_f32 v163, v166, v167                         // 000000005DAC: D26800A3 00034FA6
	v_cvt_pk_bf16_f32 v164, v168, v169                         // 000000005DB4: D26800A4 000353A8
	v_cvt_pk_bf16_f32 v165, v170, v171                         // 000000005DBC: D26800A5 000357AA
	v_cvt_pk_bf16_f32 v166, v172, v173                         // 000000005DC4: D26800A6 00035BAC
	v_cvt_pk_bf16_f32 v167, v174, v175                         // 000000005DCC: D26800A7 00035FAE
	s_cmp_ge_u32 s80, 0x200                                    // 000000005DD4: BF09FF50 00000200
	s_cselect_b32 s59, 0x200, s59                              // 000000005DDC: 853B3BFF 00000200
	s_waitcnt lgkmcnt(0)                                       // 000000005DE4: BF8CC07F
	s_barrier                                                  // 000000005DE8: BF8A0000
	s_setvskip s20, 0                                          // 000000005DEC: BF108014
	global_atomic_pk_add_bf16 v80, v64, s[8:9]                 // 000000005DF0: DD488000 00084050
	s_setvskip 0, 0                                            // 000000005DF8: BF108080
	s_setvskip s20, 0                                          // 000000005DFC: BF108014
	global_atomic_pk_add_bf16 v80, v65, s[8:9] offset:256      // 000000005E00: DD488100 00084150
	s_setvskip 0, 0                                            // 000000005E08: BF108080
	s_setvskip s20, 1                                          // 000000005E0C: BF108114
	global_atomic_pk_add_bf16 v82, v66, s[8:9]                 // 000000005E10: DD488000 00084252
	s_setvskip 0, 0                                            // 000000005E18: BF108080
	s_setvskip s20, 1                                          // 000000005E1C: BF108114
	global_atomic_pk_add_bf16 v82, v67, s[8:9] offset:256      // 000000005E20: DD488100 00084352
	s_setvskip 0, 0                                            // 000000005E28: BF108080
	s_setvskip s20, 2                                          // 000000005E2C: BF108214
	global_atomic_pk_add_bf16 v84, v68, s[8:9]                 // 000000005E30: DD488000 00084454
	s_setvskip 0, 0                                            // 000000005E38: BF108080
	s_setvskip s20, 2                                          // 000000005E3C: BF108214
	global_atomic_pk_add_bf16 v84, v69, s[8:9] offset:256      // 000000005E40: DD488100 00084554
	s_setvskip 0, 0                                            // 000000005E48: BF108080
	s_setvskip s20, 3                                          // 000000005E4C: BF108314
	global_atomic_pk_add_bf16 v86, v70, s[8:9]                 // 000000005E50: DD488000 00084656
	s_setvskip 0, 0                                            // 000000005E58: BF108080
	s_setvskip s20, 3                                          // 000000005E5C: BF108314
	global_atomic_pk_add_bf16 v86, v71, s[8:9] offset:256      // 000000005E60: DD488100 00084756
	s_setvskip 0, 0                                            // 000000005E68: BF108080
	s_add_u32 s8, s59, s8                                      // 000000005E6C: 8008083B
	s_addc_u32 s9, 0, s9                                       // 000000005E70: 82090980
	s_addk_i32 s80, 0x100                                      // 000000005E74: B7500100
	s_cmp_lt_i32 s80, s81                                      // 000000005E78: BF045150
	s_cbranch_scc0 label_0CF5                                  // 000000005E7C: BF8400D5
	s_waitcnt vmcnt(29) lgkmcnt(0)                             // 000000005E80: BF8C407D
	s_barrier                                                  // 000000005E84: BF8A0000
	v_mfma_f32_16x16x128_f8f6f4 v[176:179], a[128:135], v[128:135], 0// 000000005E88: D3AD00B0 0A030180
	ds_read_b32 v64, v5 offset:29184                           // 000000005E90: D86C7200 40000005
	ds_read_b32 v65, v5 offset:33536                           // 000000005E98: D86C8300 41000005
	ds_read_b32 v66, v5 offset:29192                           // 000000005EA0: D86C7208 42000005
	ds_read_b32 v67, v5 offset:33544                           // 000000005EA8: D86C8308 43000005
	ds_read_b32 v68, v5 offset:29216                           // 000000005EB0: D86C7220 44000005
	ds_read_b32 v69, v5 offset:33568                           // 000000005EB8: D86C8320 45000005
	ds_read_b32 v70, v5 offset:29224                           // 000000005EC0: D86C7228 46000005
	ds_read_b32 v71, v5 offset:33576                           // 000000005EC8: D86C8328 47000005
	v_mfma_f32_16x16x128_f8f6f4 v[180:183], a[136:143], v[128:135], 0// 000000005ED0: D3AD00B4 0A030188
	buffer_load_dword v20, v6, s[16:19], 0 offen               // 000000005ED8: E0501000 80041406
	buffer_load_dwordx4 a[64:67], v37, s[12:15], 0 offen       // 000000005EE0: E05C1000 80834025
	buffer_load_dwordx4 a[68:71], v37, s[12:15], 0 offen offset:1024// 000000005EE8: E05C1400 80834425
	buffer_load_dwordx4 a[72:75], v38, s[12:15], 0 offen       // 000000005EF0: E05C1000 80834826
	buffer_load_dwordx4 a[76:79], v38, s[12:15], 0 offen offset:1024// 000000005EF8: E05C1400 80834C26
	s_waitcnt vmcnt(29)                                        // 000000005F00: BF8C4F7D
	v_mfma_f32_16x16x128_f8f6f4 v[184:187], a[144:151], v[128:135], 0// 000000005F04: D3AD00B8 0A030190
	v_mfma_f32_16x16x128_f8f6f4 v[188:191], a[152:159], v[128:135], 0// 000000005F0C: D3AD00BC 0A030198
	buffer_load_dwordx4 a[80:83], v39, s[12:15], 0 offen       // 000000005F14: E05C1000 80835027
	buffer_load_dwordx4 a[84:87], v39, s[12:15], 0 offen offset:1024// 000000005F1C: E05C1400 80835427
	buffer_load_dwordx4 a[88:91], v40, s[12:15], 0 offen       // 000000005F24: E05C1000 80835828
	buffer_load_dwordx4 a[92:95], v40, s[12:15], 0 offen offset:1024// 000000005F2C: E05C1400 80835C28
	s_add_u32 s12, s78, s12                                    // 000000005F34: 800C0C4E
	s_addc_u32 s13, 0, s13                                     // 000000005F38: 820D0D80
	v_mul_f32_dpp v46, v21, v28 row_newbcast:0 row_mask:0xf bank_mask:0xf// 000000005F3C: 0A5C38FA FF015015
	v_mov_b32_e32 v47, v46                                     // 000000005F44: 7E5E032E
	v_pk_mul_f32 v[176:177], v[46:47], v[176:177]              // 000000005F48: D3B140B0 1803612E
	v_pk_mul_f32 v[178:179], v[46:47], v[178:179]              // 000000005F50: D3B140B2 1803652E
	v_pk_mul_f32 v[180:181], v[46:47], v[180:181]              // 000000005F58: D3B140B4 1803692E
	v_pk_mul_f32 v[182:183], v[46:47], v[182:183]              // 000000005F60: D3B140B6 18036D2E
	v_mul_f32_dpp v46, v21, v28 row_newbcast:1 row_mask:0xf bank_mask:0xf// 000000005F68: 0A5C38FA FF015115
	v_mov_b32_e32 v47, v46                                     // 000000005F70: 7E5E032E
	v_pk_mul_f32 v[184:185], v[46:47], v[184:185]              // 000000005F74: D3B140B8 1803712E
	v_pk_mul_f32 v[186:187], v[46:47], v[186:187]              // 000000005F7C: D3B140BA 1803752E
	v_pk_mul_f32 v[188:189], v[46:47], v[188:189]              // 000000005F84: D3B140BC 1803792E
	v_pk_mul_f32 v[190:191], v[46:47], v[190:191]              // 000000005F8C: D3B140BE 18037D2E
	s_waitcnt vmcnt(29)                                        // 000000005F94: BF8C4F7D
	v_mfma_f32_16x16x128_f8f6f4 v[144:147], a[160:167], v[136:143], 0// 000000005F98: D3AD0090 0A0311A0
	ds_write_b64 v4, v[160:161] offset:11776                   // 000000005FA0: D89A2E00 0000A004
	ds_write_b64 v4, v[162:163] offset:13952                   // 000000005FA8: D89A3680 0000A204
	ds_write_b64 v4, v[164:165] offset:16128                   // 000000005FB0: D89A3F00 0000A404
	ds_write_b64 v4, v[166:167] offset:18304                   // 000000005FB8: D89A4780 0000A604
	v_mfma_f32_16x16x128_f8f6f4 v[148:151], a[168:175], v[136:143], 0// 000000005FC0: D3AD0094 0A0311A8
	buffer_load_dwordx4 a[96:99], v37, s[12:15], 0 offen       // 000000005FC8: E05C1000 80836025
	buffer_load_dwordx4 a[100:103], v37, s[12:15], 0 offen offset:1024// 000000005FD0: E05C1400 80836425
	buffer_load_dwordx4 a[104:107], v38, s[12:15], 0 offen     // 000000005FD8: E05C1000 80836826
	buffer_load_dwordx4 a[108:111], v38, s[12:15], 0 offen offset:1024// 000000005FE0: E05C1400 80836C26
	s_waitcnt vmcnt(29)                                        // 000000005FE8: BF8C4F7D
	v_mfma_f32_16x16x128_f8f6f4 v[152:155], a[176:183], v[136:143], 0// 000000005FEC: D3AD0098 0A0311B0
	v_mfma_f32_16x16x128_f8f6f4 v[156:159], a[184:191], v[136:143], 0// 000000005FF4: D3AD009C 0A0311B8
	buffer_load_dwordx4 a[112:115], v39, s[12:15], 0 offen     // 000000005FFC: E05C1000 80837027
	buffer_load_dwordx4 a[116:119], v39, s[12:15], 0 offen offset:1024// 000000006004: E05C1400 80837427
	buffer_load_dwordx4 a[120:123], v40, s[12:15], 0 offen     // 00000000600C: E05C1000 80837828
	buffer_load_dwordx4 a[124:127], v40, s[12:15], 0 offen offset:1024// 000000006014: E05C1400 80837C28
	v_mul_f32_dpp v46, v21, v29 row_newbcast:2 row_mask:0xf bank_mask:0xf// 00000000601C: 0A5C3AFA FF015215
	v_mov_b32_e32 v47, v46                                     // 000000006024: 7E5E032E
	v_pk_fma_f32 v[176:177], v[144:145], v[46:47], v[176:177]  // 000000006028: D3B040B0 1EC25D90
	v_pk_fma_f32 v[178:179], v[146:147], v[46:47], v[178:179]  // 000000006030: D3B040B2 1ECA5D92
	v_pk_fma_f32 v[180:181], v[148:149], v[46:47], v[180:181]  // 000000006038: D3B040B4 1ED25D94
	v_pk_fma_f32 v[182:183], v[150:151], v[46:47], v[182:183]  // 000000006040: D3B040B6 1EDA5D96
	v_mul_f32_dpp v46, v21, v29 row_newbcast:3 row_mask:0xf bank_mask:0xf// 000000006048: 0A5C3AFA FF015315
	v_mov_b32_e32 v47, v46                                     // 000000006050: 7E5E032E
	v_pk_fma_f32 v[184:185], v[152:153], v[46:47], v[184:185]  // 000000006054: D3B040B8 1EE25D98
	v_pk_fma_f32 v[186:187], v[154:155], v[46:47], v[186:187]  // 00000000605C: D3B040BA 1EEA5D9A
	v_pk_fma_f32 v[188:189], v[156:157], v[46:47], v[188:189]  // 000000006064: D3B040BC 1EF25D9C
	v_pk_fma_f32 v[190:191], v[158:159], v[46:47], v[190:191]  // 00000000606C: D3B040BE 1EFA5D9E
	s_add_u32 s60, 0x300, s80                                  // 000000006074: 803C50FF 00000300
	s_cmp_lt_u32 s60, s81                                      // 00000000607C: BF0A513C
	s_cselect_b32 s56, s56, 0                                  // 000000006080: 85388038
	s_cselect_b32 s78, s78, 0                                  // 000000006084: 854E804E
	s_cselect_b32 s79, s79, 0                                  // 000000006088: 854F804F
	s_add_u32 s12, s56, s12                                    // 00000000608C: 800C0C38
	s_addc_u32 s13, 0, s13                                     // 000000006090: 820D0D80
	s_add_u32 s16, s79, s16                                    // 000000006094: 8010104F
	s_addc_u32 s17, 0, s17                                     // 000000006098: 82111180
	v_mov_b32_e32 v46, v23                                     // 00000000609C: 7E5C0317
	v_mov_b32_e32 v47, v23                                     // 0000000060A0: 7E5E0317
	v_pk_mul_f32 v[176:177], v[46:47], v[176:177]              // 0000000060A4: D3B140B0 1803612E
	v_pk_mul_f32 v[178:179], v[46:47], v[178:179]              // 0000000060AC: D3B140B2 1803652E
	v_pk_mul_f32 v[180:181], v[46:47], v[180:181]              // 0000000060B4: D3B140B4 1803692E
	v_pk_mul_f32 v[182:183], v[46:47], v[182:183]              // 0000000060BC: D3B140B6 18036D2E
	v_pk_mul_f32 v[184:185], v[46:47], v[184:185]              // 0000000060C4: D3B140B8 1803712E
	v_pk_mul_f32 v[186:187], v[46:47], v[186:187]              // 0000000060CC: D3B140BA 1803752E
	v_pk_mul_f32 v[188:189], v[46:47], v[188:189]              // 0000000060D4: D3B140BC 1803792E
	v_pk_mul_f32 v[190:191], v[46:47], v[190:191]              // 0000000060DC: D3B140BE 18037D2E
	v_cvt_pk_bf16_f32 v176, v176, v177                         // 0000000060E4: D26800B0 000363B0
	v_cvt_pk_bf16_f32 v177, v178, v179                         // 0000000060EC: D26800B1 000367B2
	v_cvt_pk_bf16_f32 v178, v180, v181                         // 0000000060F4: D26800B2 00036BB4
	v_cvt_pk_bf16_f32 v179, v182, v183                         // 0000000060FC: D26800B3 00036FB6
	v_cvt_pk_bf16_f32 v180, v184, v185                         // 000000006104: D26800B4 000373B8
	v_cvt_pk_bf16_f32 v181, v186, v187                         // 00000000610C: D26800B5 000377BA
	v_cvt_pk_bf16_f32 v182, v188, v189                         // 000000006114: D26800B6 00037BBC
	v_cvt_pk_bf16_f32 v183, v190, v191                         // 00000000611C: D26800B7 00037FBE
	s_cmp_ge_u32 s80, 0x200                                    // 000000006124: BF09FF50 00000200
	s_cselect_b32 s59, 0x200, s59                              // 00000000612C: 853B3BFF 00000200
	s_waitcnt lgkmcnt(0)                                       // 000000006134: BF8CC07F
	s_barrier                                                  // 000000006138: BF8A0000
	s_setvskip s20, 0                                          // 00000000613C: BF108014
	global_atomic_pk_add_bf16 v80, v64, s[8:9]                 // 000000006140: DD488000 00084050
	s_setvskip 0, 0                                            // 000000006148: BF108080
	s_setvskip s20, 0                                          // 00000000614C: BF108014
	global_atomic_pk_add_bf16 v80, v65, s[8:9] offset:256      // 000000006150: DD488100 00084150
	s_setvskip 0, 0                                            // 000000006158: BF108080
	s_setvskip s20, 1                                          // 00000000615C: BF108114
	global_atomic_pk_add_bf16 v82, v66, s[8:9]                 // 000000006160: DD488000 00084252
	s_setvskip 0, 0                                            // 000000006168: BF108080
	s_setvskip s20, 1                                          // 00000000616C: BF108114
	global_atomic_pk_add_bf16 v82, v67, s[8:9] offset:256      // 000000006170: DD488100 00084352
	s_setvskip 0, 0                                            // 000000006178: BF108080
	s_setvskip s20, 2                                          // 00000000617C: BF108214
	global_atomic_pk_add_bf16 v84, v68, s[8:9]                 // 000000006180: DD488000 00084454
	s_setvskip 0, 0                                            // 000000006188: BF108080
	s_setvskip s20, 2                                          // 00000000618C: BF108214
	global_atomic_pk_add_bf16 v84, v69, s[8:9] offset:256      // 000000006190: DD488100 00084554
	s_setvskip 0, 0                                            // 000000006198: BF108080
	s_setvskip s20, 3                                          // 00000000619C: BF108314
	global_atomic_pk_add_bf16 v86, v70, s[8:9]                 // 0000000061A0: DD488000 00084656
	s_setvskip 0, 0                                            // 0000000061A8: BF108080
	s_setvskip s20, 3                                          // 0000000061AC: BF108314
	global_atomic_pk_add_bf16 v86, v71, s[8:9] offset:256      // 0000000061B0: DD488100 00084756
	s_setvskip 0, 0                                            // 0000000061B8: BF108080
	s_add_u32 s8, s59, s8                                      // 0000000061BC: 8008083B
	s_addc_u32 s9, 0, s9                                       // 0000000061C0: 82090980
	s_addk_i32 s80, 0x100                                      // 0000000061C4: B7500100
	s_cmp_lt_i32 s80, s81                                      // 0000000061C8: BF045150
	s_cbranch_scc0 label_0CF5                                  // 0000000061CC: BF840001
	s_branch label_07FC                                        // 0000000061D0: BF82FB07

00000000000061d4 <label_0CF5>:
	s_nop 0                                                    // 0000000061D4: BF800000
	s_nop 0                                                    // 0000000061D8: BF800000
	s_branch label_16B9                                        // 0000000061DC: BF8209C1

00000000000061e0 <label_0CF8>:
	s_waitcnt vmcnt(28) lgkmcnt(0)                             // 0000000061E0: BF8C407C
	s_barrier                                                  // 0000000061E4: BF8A0000
	v_mfma_f32_16x16x128_f8f6f4 v[144:147], a[0:7], v[160:167], 0// 0000000061E8: D3AD0090 0A034100
	buffer_load_dwordx4 v[176:179], v31, s[20:23], 0 offen     // 0000000061F0: E05C1000 8005B01F
	buffer_load_dwordx4 v[180:183], v31, s[20:23], 0 offen offset:16// 0000000061F8: E05C1010 8005B41F
	buffer_load_dword v20, v11, s[32:35], 0 offen              // 000000006200: E0501000 8008140B
	buffer_load_dword v22, v13, s[32:35], 0 offen              // 000000006208: E0501000 8008160D
	buffer_load_dwordx4 a[128:131], v33, s[24:27], 0 offen     // 000000006210: E05C1000 80868021
	buffer_load_dwordx4 a[132:135], v33, s[24:27], 0 offen offset:1024// 000000006218: E05C1400 80868421
	buffer_load_dwordx4 a[136:139], v34, s[24:27], 0 offen     // 000000006220: E05C1000 80868822
	buffer_load_dwordx4 a[140:143], v34, s[24:27], 0 offen offset:1024// 000000006228: E05C1400 80868C22
	v_mfma_f32_16x16x128_f8f6f4 v[148:151], a[8:15], v[160:167], 0// 000000006230: D3AD0094 0A034108
	s_waitcnt vmcnt(20)                                        // 000000006238: BF8C4F74
	v_mfma_f32_16x16x128_f8f6f4 v[152:155], a[16:23], v[160:167], 0// 00000000623C: D3AD0098 0A034110
	buffer_load_dwordx4 a[144:147], v35, s[24:27], 0 offen     // 000000006244: E05C1000 80869023
	buffer_load_dwordx4 a[148:151], v35, s[24:27], 0 offen offset:1024// 00000000624C: E05C1400 80869423
	buffer_load_dwordx4 a[152:155], v36, s[24:27], 0 offen     // 000000006254: E05C1000 80869824
	buffer_load_dwordx4 a[156:159], v36, s[24:27], 0 offen offset:1024// 00000000625C: E05C1400 80869C24
	v_mfma_f32_16x16x128_f8f6f4 v[156:159], a[24:31], v[160:167], 0// 000000006264: D3AD009C 0A034118
	v_mul_f32_dpp v46, v19, v15 row_newbcast:0 row_mask:0xf bank_mask:0xf// 00000000626C: 0A5C1EFA FF015013
	v_mov_b32_e32 v47, v46                                     // 000000006274: 7E5E032E
	v_pk_fma_f32 v[128:129], v[144:145], v[46:47], v[128:129]  // 000000006278: D3B04080 1E025D90
	v_pk_fma_f32 v[130:131], v[146:147], v[46:47], v[130:131]  // 000000006280: D3B04082 1E0A5D92
	v_pk_fma_f32 v[132:133], v[148:149], v[46:47], v[132:133]  // 000000006288: D3B04084 1E125D94
	v_pk_fma_f32 v[134:135], v[150:151], v[46:47], v[134:135]  // 000000006290: D3B04086 1E1A5D96
	v_mul_f32_dpp v46, v19, v15 row_newbcast:1 row_mask:0xf bank_mask:0xf// 000000006298: 0A5C1EFA FF015113
	v_mov_b32_e32 v47, v46                                     // 0000000062A0: 7E5E032E
	v_pk_fma_f32 v[136:137], v[152:153], v[46:47], v[136:137]  // 0000000062A4: D3B04088 1E225D98
	v_pk_fma_f32 v[138:139], v[154:155], v[46:47], v[138:139]  // 0000000062AC: D3B0408A 1E2A5D9A
	v_pk_fma_f32 v[140:141], v[156:157], v[46:47], v[140:141]  // 0000000062B4: D3B0408C 1E325D9C
	v_pk_fma_f32 v[142:143], v[158:159], v[46:47], v[142:143]  // 0000000062BC: D3B0408E 1E3A5D9E
	s_waitcnt vmcnt(20)                                        // 0000000062C4: BF8C4F74
	v_mfma_f32_16x16x128_f8f6f4 v[144:147], a[32:39], v[168:175], 0// 0000000062C8: D3AD0090 0A035120
	buffer_load_dwordx4 a[160:163], v33, s[24:27], 0 offen offset:2048// 0000000062D0: E05C1800 8086A021
	buffer_load_dwordx4 a[164:167], v33, s[24:27], 0 offen offset:3072// 0000000062D8: E05C1C00 8086A421
	buffer_load_dwordx4 a[168:171], v34, s[24:27], 0 offen offset:2048// 0000000062E0: E05C1800 8086A822
	buffer_load_dwordx4 a[172:175], v34, s[24:27], 0 offen offset:3072// 0000000062E8: E05C1C00 8086AC22
	v_mfma_f32_16x16x128_f8f6f4 v[148:151], a[40:47], v[168:175], 0// 0000000062F0: D3AD0094 0A035128
	s_waitcnt vmcnt(20)                                        // 0000000062F8: BF8C4F74
	v_mfma_f32_16x16x128_f8f6f4 v[152:155], a[48:55], v[168:175], 0// 0000000062FC: D3AD0098 0A035130
	buffer_load_dwordx4 a[176:179], v35, s[24:27], 0 offen offset:2048// 000000006304: E05C1800 8086B023
	buffer_load_dwordx4 a[180:183], v35, s[24:27], 0 offen offset:3072// 00000000630C: E05C1C00 8086B423
	buffer_load_dwordx4 a[184:187], v36, s[24:27], 0 offen offset:2048// 000000006314: E05C1800 8086B824
	buffer_load_dwordx4 a[188:191], v36, s[24:27], 0 offen offset:3072// 00000000631C: E05C1C00 8086BC24
	v_mfma_f32_16x16x128_f8f6f4 v[156:159], a[56:63], v[168:175], 0// 000000006324: D3AD009C 0A035138
	v_mul_f32_dpp v46, v19, v16 row_newbcast:2 row_mask:0xf bank_mask:0xf// 00000000632C: 0A5C20FA FF015213
	v_mov_b32_e32 v47, v46                                     // 000000006334: 7E5E032E
	v_pk_fma_f32 v[128:129], v[144:145], v[46:47], v[128:129]  // 000000006338: D3B04080 1E025D90
	v_pk_fma_f32 v[130:131], v[146:147], v[46:47], v[130:131]  // 000000006340: D3B04082 1E0A5D92
	v_pk_fma_f32 v[132:133], v[148:149], v[46:47], v[132:133]  // 000000006348: D3B04084 1E125D94
	v_pk_fma_f32 v[134:135], v[150:151], v[46:47], v[134:135]  // 000000006350: D3B04086 1E1A5D96
	v_mul_f32_dpp v46, v19, v16 row_newbcast:3 row_mask:0xf bank_mask:0xf// 000000006358: 0A5C20FA FF015313
	v_mov_b32_e32 v47, v46                                     // 000000006360: 7E5E032E
	v_pk_fma_f32 v[136:137], v[152:153], v[46:47], v[136:137]  // 000000006364: D3B04088 1E225D98
	v_pk_fma_f32 v[138:139], v[154:155], v[46:47], v[138:139]  // 00000000636C: D3B0408A 1E2A5D9A
	v_pk_fma_f32 v[140:141], v[156:157], v[46:47], v[140:141]  // 000000006374: D3B0408C 1E325D9C
	v_pk_fma_f32 v[142:143], v[158:159], v[46:47], v[142:143]  // 00000000637C: D3B0408E 1E3A5D9E
	s_add_u32 s60, 0x200, s80                                  // 000000006384: 803C50FF 00000200
	s_cmp_lt_u32 s60, s81                                      // 00000000638C: BF0A513C
	s_cselect_b32 s4, s4, 0                                    // 000000006390: 85048004
	s_add_u32 s32, s4, s32                                     // 000000006394: 80202004
	s_addc_u32 s33, 0, s33                                     // 000000006398: 82212180
	s_waitcnt vmcnt(0)                                         // 00000000639C: BF8C0F70
	s_barrier                                                  // 0000000063A0: BF8A0000
	v_mfma_f32_16x16x128_f8f6f4 v[144:147], a[64:71], v[160:167], 0// 0000000063A4: D3AD0090 0A034140
	buffer_load_dwordx4 a[192:195], v33, s[92:95], 0 offen     // 0000000063AC: E05C1000 8097C021
	buffer_load_dwordx4 a[196:199], v33, s[92:95], 0 offen offset:1024// 0000000063B4: E05C1400 8097C421
	buffer_load_dwordx4 a[200:203], v34, s[92:95], 0 offen     // 0000000063BC: E05C1000 8097C822
	buffer_load_dwordx4 a[204:207], v34, s[92:95], 0 offen offset:1024// 0000000063C4: E05C1400 8097CC22
	v_mfma_f32_16x16x128_f8f6f4 v[148:151], a[72:79], v[160:167], 0// 0000000063CC: D3AD0094 0A034148
	s_waitcnt vmcnt(4)                                         // 0000000063D4: BF8C0F74
	v_mfma_f32_16x16x128_f8f6f4 v[152:155], a[80:87], v[160:167], 0// 0000000063D8: D3AD0098 0A034150
	buffer_load_dwordx4 a[208:211], v35, s[92:95], 0 offen     // 0000000063E0: E05C1000 8097D023
	buffer_load_dwordx4 a[212:215], v35, s[92:95], 0 offen offset:1024// 0000000063E8: E05C1400 8097D423
	buffer_load_dwordx4 a[216:219], v36, s[92:95], 0 offen     // 0000000063F0: E05C1000 8097D824
	buffer_load_dwordx4 a[220:223], v36, s[92:95], 0 offen offset:1024// 0000000063F8: E05C1400 8097DC24
	v_mfma_f32_16x16x128_f8f6f4 v[156:159], a[88:95], v[160:167], 0// 000000006400: D3AD009C 0A034158
	s_waitcnt vmcnt(8)                                         // 000000006408: BF8C0F78
	v_mov_b32_e32 v26, 0                                       // 00000000640C: 7E340280
	v_lshlrev_b32_e32 v46, 16, v176                            // 000000006410: 245D6090
	v_and_b32_e32 v47, 0xffff0000, v176                        // 000000006414: 265F60FF FFFF0000
	v_max3_f32 v26, |v47|, |v46|, v26                          // 00000000641C: D1D3031A 046A5D2F
	v_lshlrev_b32_e32 v46, 16, v177                            // 000000006424: 245D6290
	v_and_b32_e32 v47, 0xffff0000, v177                        // 000000006428: 265F62FF FFFF0000
	v_max3_f32 v26, |v47|, |v46|, v26                          // 000000006430: D1D3031A 046A5D2F
	v_lshlrev_b32_e32 v46, 16, v178                            // 000000006438: 245D6490
	v_and_b32_e32 v47, 0xffff0000, v178                        // 00000000643C: 265F64FF FFFF0000
	v_max3_f32 v26, |v47|, |v46|, v26                          // 000000006444: D1D3031A 046A5D2F
	v_lshlrev_b32_e32 v46, 16, v179                            // 00000000644C: 245D6690
	v_and_b32_e32 v47, 0xffff0000, v179                        // 000000006450: 265F66FF FFFF0000
	v_max3_f32 v26, |v47|, |v46|, v26                          // 000000006458: D1D3031A 046A5D2F
	v_lshlrev_b32_e32 v46, 16, v180                            // 000000006460: 245D6890
	v_and_b32_e32 v47, 0xffff0000, v180                        // 000000006464: 265F68FF FFFF0000
	v_max3_f32 v26, |v47|, |v46|, v26                          // 00000000646C: D1D3031A 046A5D2F
	v_lshlrev_b32_e32 v46, 16, v181                            // 000000006474: 245D6A90
	v_and_b32_e32 v47, 0xffff0000, v181                        // 000000006478: 265F6AFF FFFF0000
	v_max3_f32 v26, |v47|, |v46|, v26                          // 000000006480: D1D3031A 046A5D2F
	v_lshlrev_b32_e32 v46, 16, v182                            // 000000006488: 245D6C90
	v_and_b32_e32 v47, 0xffff0000, v182                        // 00000000648C: 265F6CFF FFFF0000
	v_max3_f32 v26, |v47|, |v46|, v26                          // 000000006494: D1D3031A 046A5D2F
	v_lshlrev_b32_e32 v46, 16, v183                            // 00000000649C: 245D6E90
	v_and_b32_e32 v47, 0xffff0000, v183                        // 0000000064A0: 265F6EFF FFFF0000
	v_max3_f32 v26, |v47|, |v46|, v26                          // 0000000064A8: D1D3031A 046A5D2F
	s_barrier                                                  // 0000000064B0: BF8A0000
	v_max_f32_dpp v27, v26, v26 quad_perm:[1,2,3,0] row_mask:0xf bank_mask:0xf// 0000000064B4: 163634FA FF00391A
	s_nop 1                                                    // 0000000064BC: BF800001
	v_max_f32_dpp v46, v27, v27 quad_perm:[2,3,0,1] row_mask:0xf bank_mask:0xf// 0000000064C0: 165C36FA FF004E1B
	s_nop 1                                                    // 0000000064C8: BF800001
	v_max_f32_dpp v26, v46, v46 row_half_mirror row_mask:0xf bank_mask:0xf// 0000000064CC: 16345CFA FF01412E
	v_rcp_f32_e32 v46, v26                                     // 0000000064D4: 7E5C451A
	v_mov_b32_e32 v47, 0x43e00000                              // 0000000064D8: 7E5E02FF 43E00000
	v_mul_f32_e32 v27, v47, v46                                // 0000000064E0: 0A365D2F
	v_mov_b32_e32 v26, v27                                     // 0000000064E4: 7E34031B
	v_lshlrev_b32_e32 v46, 16, v176                            // 0000000064E8: 245D6090
	v_and_b32_e32 v47, 0xffff0000, v176                        // 0000000064EC: 265F60FF FFFF0000
	v_pk_mul_f32 v[46:47], v[46:47], v[26:27]                  // 0000000064F4: D3B1402E 1802352E
	v_cvt_pk_fp8_f32 v176, v46, v47                            // 0000000064FC: D2A200B0 00025F2E
	v_lshlrev_b32_e32 v46, 16, v177                            // 000000006504: 245D6290
	v_and_b32_e32 v47, 0xffff0000, v177                        // 000000006508: 265F62FF FFFF0000
	v_pk_mul_f32 v[46:47], v[46:47], v[26:27]                  // 000000006510: D3B1402E 1802352E
	v_cvt_pk_fp8_f32 v176, v46, v47 op_sel:[0,0,1]             // 000000006518: D2A240B0 00025F2E
	v_lshlrev_b32_e32 v46, 16, v178                            // 000000006520: 245D6490
	v_and_b32_e32 v47, 0xffff0000, v178                        // 000000006524: 265F64FF FFFF0000
	v_pk_mul_f32 v[46:47], v[46:47], v[26:27]                  // 00000000652C: D3B1402E 1802352E
	v_cvt_pk_fp8_f32 v177, v46, v47                            // 000000006534: D2A200B1 00025F2E
	v_lshlrev_b32_e32 v46, 16, v179                            // 00000000653C: 245D6690
	v_and_b32_e32 v47, 0xffff0000, v179                        // 000000006540: 265F66FF FFFF0000
	v_pk_mul_f32 v[46:47], v[46:47], v[26:27]                  // 000000006548: D3B1402E 1802352E
	v_cvt_pk_fp8_f32 v177, v46, v47 op_sel:[0,0,1]             // 000000006550: D2A240B1 00025F2E
	v_lshlrev_b32_e32 v46, 16, v180                            // 000000006558: 245D6890
	v_and_b32_e32 v47, 0xffff0000, v180                        // 00000000655C: 265F68FF FFFF0000
	v_pk_mul_f32 v[46:47], v[46:47], v[26:27]                  // 000000006564: D3B1402E 1802352E
	v_cvt_pk_fp8_f32 v178, v46, v47                            // 00000000656C: D2A200B2 00025F2E
	v_lshlrev_b32_e32 v46, 16, v181                            // 000000006574: 245D6A90
	v_and_b32_e32 v47, 0xffff0000, v181                        // 000000006578: 265F6AFF FFFF0000
	v_pk_mul_f32 v[46:47], v[46:47], v[26:27]                  // 000000006580: D3B1402E 1802352E
	v_cvt_pk_fp8_f32 v178, v46, v47 op_sel:[0,0,1]             // 000000006588: D2A240B2 00025F2E
	v_lshlrev_b32_e32 v46, 16, v182                            // 000000006590: 245D6C90
	v_and_b32_e32 v47, 0xffff0000, v182                        // 000000006594: 265F6CFF FFFF0000
	v_pk_mul_f32 v[46:47], v[46:47], v[26:27]                  // 00000000659C: D3B1402E 1802352E
	v_cvt_pk_fp8_f32 v179, v46, v47                            // 0000000065A4: D2A200B3 00025F2E
	v_lshlrev_b32_e32 v46, 16, v183                            // 0000000065AC: 245D6E90
	v_and_b32_e32 v47, 0xffff0000, v183                        // 0000000065B0: 265F6EFF FFFF0000
	v_pk_mul_f32 v[46:47], v[46:47], v[26:27]                  // 0000000065B8: D3B1402E 1802352E
	v_cvt_pk_fp8_f32 v179, v46, v47 op_sel:[0,0,1]             // 0000000065C0: D2A240B3 00025F2E
	v_lshlrev_b32_e32 v46, 4, v0                               // 0000000065C8: 245C0084
	v_add_u32_e64 v46, v46, s51                                // 0000000065CC: D134002E 0000672E
	ds_write_b128 v46, v[176:179]                              // 0000000065D4: D9BE0000 0000B02E
	v_rcp_f32_e32 v28, v27                                     // 0000000065DC: 7E38451B
	v_add_u32_e32 v46, 0, v30                                  // 0000000065E0: 685C3C80
	s_mov_b64 s[60:61], exec                                   // 0000000065E4: BEBC017E
	s_mov_b32 s62, 0xf0f0f0f                                   // 0000000065E8: BEBE00FF 0F0F0F0F
	s_mov_b32 s63, 0xf0f0f0f                                   // 0000000065F0: BEBF00FF 0F0F0F0F
	s_mov_b64 exec, s[62:63]                                   // 0000000065F8: BEFE013E
	ds_write_b32 v46, v28 offset:9728                          // 0000000065FC: D81A2600 00001C2E
	s_mov_b64 exec, s[60:61]                                   // 000000006604: BEFE013C
	v_mul_f32_dpp v46, v21, v15 row_newbcast:0 row_mask:0xf bank_mask:0xf// 000000006608: 0A5C1EFA FF015015
	v_mov_b32_e32 v47, v46                                     // 000000006610: 7E5E032E
	v_pk_fma_f32 v[64:65], v[144:145], v[46:47], v[64:65]      // 000000006614: D3B04040 1D025D90
	v_pk_fma_f32 v[66:67], v[146:147], v[46:47], v[66:67]      // 00000000661C: D3B04042 1D0A5D92
	v_pk_fma_f32 v[68:69], v[148:149], v[46:47], v[68:69]      // 000000006624: D3B04044 1D125D94
	v_pk_fma_f32 v[70:71], v[150:151], v[46:47], v[70:71]      // 00000000662C: D3B04046 1D1A5D96
	v_mul_f32_dpp v46, v21, v15 row_newbcast:1 row_mask:0xf bank_mask:0xf// 000000006634: 0A5C1EFA FF015115
	v_mov_b32_e32 v47, v46                                     // 00000000663C: 7E5E032E
	v_pk_fma_f32 v[72:73], v[152:153], v[46:47], v[72:73]      // 000000006640: D3B04048 1D225D98
	v_pk_fma_f32 v[74:75], v[154:155], v[46:47], v[74:75]      // 000000006648: D3B0404A 1D2A5D9A
	v_pk_fma_f32 v[76:77], v[156:157], v[46:47], v[76:77]      // 000000006650: D3B0404C 1D325D9C
	v_pk_fma_f32 v[78:79], v[158:159], v[46:47], v[78:79]      // 000000006658: D3B0404E 1D3A5D9E
	s_waitcnt vmcnt(4)                                         // 000000006660: BF8C0F74
	v_mfma_f32_16x16x128_f8f6f4 v[144:147], a[96:103], v[168:175], 0// 000000006664: D3AD0090 0A035160
	buffer_load_dwordx4 a[224:227], v33, s[92:95], 0 offen offset:2048// 00000000666C: E05C1800 8097E021
	buffer_load_dwordx4 a[228:231], v33, s[92:95], 0 offen offset:3072// 000000006674: E05C1C00 8097E421
	buffer_load_dwordx4 a[232:235], v34, s[92:95], 0 offen offset:2048// 00000000667C: E05C1800 8097E822
	buffer_load_dwordx4 a[236:239], v34, s[92:95], 0 offen offset:3072// 000000006684: E05C1C00 8097EC22
	v_mfma_f32_16x16x128_f8f6f4 v[148:151], a[104:111], v[168:175], 0// 00000000668C: D3AD0094 0A035168
	s_waitcnt lgkmcnt(0)                                       // 000000006694: BF8CC07F
	s_barrier                                                  // 000000006698: BF8A0000
	ds_read_b128 v[176:179], v2 offset:5376                    // 00000000669C: D9FE1500 B0000002
	ds_read_b128 v[180:183], v2 offset:5440                    // 0000000066A4: D9FE1540 B4000002
	ds_read_b32 v17, v3 offset:9728                            // 0000000066AC: D86C2600 11000003
	s_waitcnt vmcnt(4)                                         // 0000000066B4: BF8C0F74
	v_mfma_f32_16x16x128_f8f6f4 v[152:155], a[112:119], v[168:175], 0// 0000000066B8: D3AD0098 0A035170
	buffer_load_dwordx4 a[240:243], v35, s[92:95], 0 offen offset:2048// 0000000066C0: E05C1800 8097F023
	buffer_load_dwordx4 a[244:247], v35, s[92:95], 0 offen offset:3072// 0000000066C8: E05C1C00 8097F423
	buffer_load_dwordx4 a[248:251], v36, s[92:95], 0 offen offset:2048// 0000000066D0: E05C1800 8097F824
	buffer_load_dwordx4 a[252:255], v36, s[92:95], 0 offen offset:3072// 0000000066D8: E05C1C00 8097FC24
	v_mfma_f32_16x16x128_f8f6f4 v[156:159], a[120:127], v[168:175], 0// 0000000066E0: D3AD009C 0A035178
	ds_read_b128 v[184:187], v2 offset:5888                    // 0000000066E8: D9FE1700 B8000002
	ds_read_b128 v[188:191], v2 offset:5952                    // 0000000066F0: D9FE1740 BC000002
	ds_read_b32 v18, v3 offset:9984                            // 0000000066F8: D86C2700 12000003
	v_mul_f32_dpp v46, v21, v16 row_newbcast:2 row_mask:0xf bank_mask:0xf// 000000006700: 0A5C20FA FF015215
	v_mov_b32_e32 v47, v46                                     // 000000006708: 7E5E032E
	v_pk_fma_f32 v[64:65], v[144:145], v[46:47], v[64:65]      // 00000000670C: D3B04040 1D025D90
	v_pk_fma_f32 v[66:67], v[146:147], v[46:47], v[66:67]      // 000000006714: D3B04042 1D0A5D92
	v_pk_fma_f32 v[68:69], v[148:149], v[46:47], v[68:69]      // 00000000671C: D3B04044 1D125D94
	v_pk_fma_f32 v[70:71], v[150:151], v[46:47], v[70:71]      // 000000006724: D3B04046 1D1A5D96
	v_mul_f32_dpp v46, v21, v16 row_newbcast:3 row_mask:0xf bank_mask:0xf// 00000000672C: 0A5C20FA FF015315
	v_mov_b32_e32 v47, v46                                     // 000000006734: 7E5E032E
	v_pk_fma_f32 v[72:73], v[152:153], v[46:47], v[72:73]      // 000000006738: D3B04048 1D225D98
	v_pk_fma_f32 v[74:75], v[154:155], v[46:47], v[74:75]      // 000000006740: D3B0404A 1D2A5D9A
	v_pk_fma_f32 v[76:77], v[156:157], v[46:47], v[76:77]      // 000000006748: D3B0404C 1D325D9C
	v_pk_fma_f32 v[78:79], v[158:159], v[46:47], v[78:79]      // 000000006750: D3B0404E 1D3A5D9E
	s_add_u32 s60, 0x200, s80                                  // 000000006758: 803C50FF 00000200
	s_cmp_lt_u32 s60, s81                                      // 000000006760: BF0A513C
	s_cselect_b32 s57, s57, 0                                  // 000000006764: 85398039
	s_add_u32 s60, 0x200, s80                                  // 000000006768: 803C50FF 00000200
	s_cmp_lt_u32 s60, s81                                      // 000000006770: BF0A513C
	s_cselect_b32 s58, s58, 0                                  // 000000006774: 853A803A
	s_cselect_b32 s90, s90, 0                                  // 000000006778: 855A805A
	s_add_u32 s20, s57, s20                                    // 00000000677C: 80141439
	s_addc_u32 s21, 0, s21                                     // 000000006780: 82151580
	s_add_u32 s24, s58, s24                                    // 000000006784: 8018183A
	s_addc_u32 s25, 0, s25                                     // 000000006788: 82191980
	s_add_u32 s92, s90, s92                                    // 00000000678C: 805C5C5A
	s_addc_u32 s93, 0, s93                                     // 000000006790: 825D5D80
	s_addk_i32 s80, 0x100                                      // 000000006794: B7500100
	s_cmp_lt_i32 s80, s81                                      // 000000006798: BF045150
	s_cbranch_scc0 label_0FD9                                  // 00000000679C: BF840171
	s_waitcnt vmcnt(28) lgkmcnt(0)                             // 0000000067A0: BF8C407C
	s_barrier                                                  // 0000000067A4: BF8A0000
	v_mfma_f32_16x16x128_f8f6f4 v[144:147], a[128:135], v[176:183], 0// 0000000067A8: D3AD0090 0A036180
	buffer_load_dwordx4 v[160:163], v31, s[20:23], 0 offen     // 0000000067B0: E05C1000 8005A01F
	buffer_load_dwordx4 v[164:167], v31, s[20:23], 0 offen offset:16// 0000000067B8: E05C1010 8005A41F
	buffer_load_dword v19, v11, s[32:35], 0 offen              // 0000000067C0: E0501000 8008130B
	buffer_load_dword v21, v13, s[32:35], 0 offen              // 0000000067C8: E0501000 8008150D
	buffer_load_dwordx4 a[0:3], v33, s[24:27], 0 offen         // 0000000067D0: E05C1000 80860021
	buffer_load_dwordx4 a[4:7], v33, s[24:27], 0 offen offset:1024// 0000000067D8: E05C1400 80860421
	buffer_load_dwordx4 a[8:11], v34, s[24:27], 0 offen        // 0000000067E0: E05C1000 80860822
	buffer_load_dwordx4 a[12:15], v34, s[24:27], 0 offen offset:1024// 0000000067E8: E05C1400 80860C22
	v_mfma_f32_16x16x128_f8f6f4 v[148:151], a[136:143], v[176:183], 0// 0000000067F0: D3AD0094 0A036188
	s_waitcnt vmcnt(20)                                        // 0000000067F8: BF8C4F74
	v_mfma_f32_16x16x128_f8f6f4 v[152:155], a[144:151], v[176:183], 0// 0000000067FC: D3AD0098 0A036190
	buffer_load_dwordx4 a[16:19], v35, s[24:27], 0 offen       // 000000006804: E05C1000 80861023
	buffer_load_dwordx4 a[20:23], v35, s[24:27], 0 offen offset:1024// 00000000680C: E05C1400 80861423
	buffer_load_dwordx4 a[24:27], v36, s[24:27], 0 offen       // 000000006814: E05C1000 80861824
	buffer_load_dwordx4 a[28:31], v36, s[24:27], 0 offen offset:1024// 00000000681C: E05C1400 80861C24
	v_mfma_f32_16x16x128_f8f6f4 v[156:159], a[152:159], v[176:183], 0// 000000006824: D3AD009C 0A036198
	v_mul_f32_dpp v46, v20, v17 row_newbcast:0 row_mask:0xf bank_mask:0xf// 00000000682C: 0A5C22FA FF015014
	v_mov_b32_e32 v47, v46                                     // 000000006834: 7E5E032E
	v_pk_fma_f32 v[128:129], v[144:145], v[46:47], v[128:129]  // 000000006838: D3B04080 1E025D90
	v_pk_fma_f32 v[130:131], v[146:147], v[46:47], v[130:131]  // 000000006840: D3B04082 1E0A5D92
	v_pk_fma_f32 v[132:133], v[148:149], v[46:47], v[132:133]  // 000000006848: D3B04084 1E125D94
	v_pk_fma_f32 v[134:135], v[150:151], v[46:47], v[134:135]  // 000000006850: D3B04086 1E1A5D96
	v_mul_f32_dpp v46, v20, v17 row_newbcast:1 row_mask:0xf bank_mask:0xf// 000000006858: 0A5C22FA FF015114
	v_mov_b32_e32 v47, v46                                     // 000000006860: 7E5E032E
	v_pk_fma_f32 v[136:137], v[152:153], v[46:47], v[136:137]  // 000000006864: D3B04088 1E225D98
	v_pk_fma_f32 v[138:139], v[154:155], v[46:47], v[138:139]  // 00000000686C: D3B0408A 1E2A5D9A
	v_pk_fma_f32 v[140:141], v[156:157], v[46:47], v[140:141]  // 000000006874: D3B0408C 1E325D9C
	v_pk_fma_f32 v[142:143], v[158:159], v[46:47], v[142:143]  // 00000000687C: D3B0408E 1E3A5D9E
	s_waitcnt vmcnt(20)                                        // 000000006884: BF8C4F74
	v_mfma_f32_16x16x128_f8f6f4 v[144:147], a[160:167], v[184:191], 0// 000000006888: D3AD0090 0A0371A0
	buffer_load_dwordx4 a[32:35], v33, s[24:27], 0 offen offset:2048// 000000006890: E05C1800 80862021
	buffer_load_dwordx4 a[36:39], v33, s[24:27], 0 offen offset:3072// 000000006898: E05C1C00 80862421
	buffer_load_dwordx4 a[40:43], v34, s[24:27], 0 offen offset:2048// 0000000068A0: E05C1800 80862822
	buffer_load_dwordx4 a[44:47], v34, s[24:27], 0 offen offset:3072// 0000000068A8: E05C1C00 80862C22
	v_mfma_f32_16x16x128_f8f6f4 v[148:151], a[168:175], v[184:191], 0// 0000000068B0: D3AD0094 0A0371A8
	s_waitcnt vmcnt(20)                                        // 0000000068B8: BF8C4F74
	v_mfma_f32_16x16x128_f8f6f4 v[152:155], a[176:183], v[184:191], 0// 0000000068BC: D3AD0098 0A0371B0
	buffer_load_dwordx4 a[48:51], v35, s[24:27], 0 offen offset:2048// 0000000068C4: E05C1800 80863023
	buffer_load_dwordx4 a[52:55], v35, s[24:27], 0 offen offset:3072// 0000000068CC: E05C1C00 80863423
	buffer_load_dwordx4 a[56:59], v36, s[24:27], 0 offen offset:2048// 0000000068D4: E05C1800 80863824
	buffer_load_dwordx4 a[60:63], v36, s[24:27], 0 offen offset:3072// 0000000068DC: E05C1C00 80863C24
	v_mfma_f32_16x16x128_f8f6f4 v[156:159], a[184:191], v[184:191], 0// 0000000068E4: D3AD009C 0A0371B8
	v_mul_f32_dpp v46, v20, v18 row_newbcast:2 row_mask:0xf bank_mask:0xf// 0000000068EC: 0A5C24FA FF015214
	v_mov_b32_e32 v47, v46                                     // 0000000068F4: 7E5E032E
	v_pk_fma_f32 v[128:129], v[144:145], v[46:47], v[128:129]  // 0000000068F8: D3B04080 1E025D90
	v_pk_fma_f32 v[130:131], v[146:147], v[46:47], v[130:131]  // 000000006900: D3B04082 1E0A5D92
	v_pk_fma_f32 v[132:133], v[148:149], v[46:47], v[132:133]  // 000000006908: D3B04084 1E125D94
	v_pk_fma_f32 v[134:135], v[150:151], v[46:47], v[134:135]  // 000000006910: D3B04086 1E1A5D96
	v_mul_f32_dpp v46, v20, v18 row_newbcast:3 row_mask:0xf bank_mask:0xf// 000000006918: 0A5C24FA FF015314
	v_mov_b32_e32 v47, v46                                     // 000000006920: 7E5E032E
	v_pk_fma_f32 v[136:137], v[152:153], v[46:47], v[136:137]  // 000000006924: D3B04088 1E225D98
	v_pk_fma_f32 v[138:139], v[154:155], v[46:47], v[138:139]  // 00000000692C: D3B0408A 1E2A5D9A
	v_pk_fma_f32 v[140:141], v[156:157], v[46:47], v[140:141]  // 000000006934: D3B0408C 1E325D9C
	v_pk_fma_f32 v[142:143], v[158:159], v[46:47], v[142:143]  // 00000000693C: D3B0408E 1E3A5D9E
	s_add_u32 s60, 0x200, s80                                  // 000000006944: 803C50FF 00000200
	s_cmp_lt_u32 s60, s81                                      // 00000000694C: BF0A513C
	s_cselect_b32 s4, s4, 0                                    // 000000006950: 85048004
	s_add_u32 s32, s4, s32                                     // 000000006954: 80202004
	s_addc_u32 s33, 0, s33                                     // 000000006958: 82212180
	s_waitcnt vmcnt(0)                                         // 00000000695C: BF8C0F70
	s_barrier                                                  // 000000006960: BF8A0000
	v_mfma_f32_16x16x128_f8f6f4 v[144:147], a[192:199], v[176:183], 0// 000000006964: D3AD0090 0A0361C0
	buffer_load_dwordx4 a[64:67], v33, s[92:95], 0 offen       // 00000000696C: E05C1000 80974021
	buffer_load_dwordx4 a[68:71], v33, s[92:95], 0 offen offset:1024// 000000006974: E05C1400 80974421
	buffer_load_dwordx4 a[72:75], v34, s[92:95], 0 offen       // 00000000697C: E05C1000 80974822
	buffer_load_dwordx4 a[76:79], v34, s[92:95], 0 offen offset:1024// 000000006984: E05C1400 80974C22
	v_mfma_f32_16x16x128_f8f6f4 v[148:151], a[200:207], v[176:183], 0// 00000000698C: D3AD0094 0A0361C8
	s_waitcnt vmcnt(4)                                         // 000000006994: BF8C0F74
	v_mfma_f32_16x16x128_f8f6f4 v[152:155], a[208:215], v[176:183], 0// 000000006998: D3AD0098 0A0361D0
	buffer_load_dwordx4 a[80:83], v35, s[92:95], 0 offen       // 0000000069A0: E05C1000 80975023
	buffer_load_dwordx4 a[84:87], v35, s[92:95], 0 offen offset:1024// 0000000069A8: E05C1400 80975423
	buffer_load_dwordx4 a[88:91], v36, s[92:95], 0 offen       // 0000000069B0: E05C1000 80975824
	buffer_load_dwordx4 a[92:95], v36, s[92:95], 0 offen offset:1024// 0000000069B8: E05C1400 80975C24
	v_mfma_f32_16x16x128_f8f6f4 v[156:159], a[216:223], v[176:183], 0// 0000000069C0: D3AD009C 0A0361D8
	s_waitcnt vmcnt(8)                                         // 0000000069C8: BF8C0F78
	v_mov_b32_e32 v26, 0                                       // 0000000069CC: 7E340280
	v_lshlrev_b32_e32 v46, 16, v160                            // 0000000069D0: 245D4090
	v_and_b32_e32 v47, 0xffff0000, v160                        // 0000000069D4: 265F40FF FFFF0000
	v_max3_f32 v26, |v47|, |v46|, v26                          // 0000000069DC: D1D3031A 046A5D2F
	v_lshlrev_b32_e32 v46, 16, v161                            // 0000000069E4: 245D4290
	v_and_b32_e32 v47, 0xffff0000, v161                        // 0000000069E8: 265F42FF FFFF0000
	v_max3_f32 v26, |v47|, |v46|, v26                          // 0000000069F0: D1D3031A 046A5D2F
	v_lshlrev_b32_e32 v46, 16, v162                            // 0000000069F8: 245D4490
	v_and_b32_e32 v47, 0xffff0000, v162                        // 0000000069FC: 265F44FF FFFF0000
	v_max3_f32 v26, |v47|, |v46|, v26                          // 000000006A04: D1D3031A 046A5D2F
	v_lshlrev_b32_e32 v46, 16, v163                            // 000000006A0C: 245D4690
	v_and_b32_e32 v47, 0xffff0000, v163                        // 000000006A10: 265F46FF FFFF0000
	v_max3_f32 v26, |v47|, |v46|, v26                          // 000000006A18: D1D3031A 046A5D2F
	v_lshlrev_b32_e32 v46, 16, v164                            // 000000006A20: 245D4890
	v_and_b32_e32 v47, 0xffff0000, v164                        // 000000006A24: 265F48FF FFFF0000
	v_max3_f32 v26, |v47|, |v46|, v26                          // 000000006A2C: D1D3031A 046A5D2F
	v_lshlrev_b32_e32 v46, 16, v165                            // 000000006A34: 245D4A90
	v_and_b32_e32 v47, 0xffff0000, v165                        // 000000006A38: 265F4AFF FFFF0000
	v_max3_f32 v26, |v47|, |v46|, v26                          // 000000006A40: D1D3031A 046A5D2F
	v_lshlrev_b32_e32 v46, 16, v166                            // 000000006A48: 245D4C90
	v_and_b32_e32 v47, 0xffff0000, v166                        // 000000006A4C: 265F4CFF FFFF0000
	v_max3_f32 v26, |v47|, |v46|, v26                          // 000000006A54: D1D3031A 046A5D2F
	v_lshlrev_b32_e32 v46, 16, v167                            // 000000006A5C: 245D4E90
	v_and_b32_e32 v47, 0xffff0000, v167                        // 000000006A60: 265F4EFF FFFF0000
	v_max3_f32 v26, |v47|, |v46|, v26                          // 000000006A68: D1D3031A 046A5D2F
	s_barrier                                                  // 000000006A70: BF8A0000
	v_max_f32_dpp v27, v26, v26 quad_perm:[1,2,3,0] row_mask:0xf bank_mask:0xf// 000000006A74: 163634FA FF00391A
	s_nop 1                                                    // 000000006A7C: BF800001
	v_max_f32_dpp v46, v27, v27 quad_perm:[2,3,0,1] row_mask:0xf bank_mask:0xf// 000000006A80: 165C36FA FF004E1B
	s_nop 1                                                    // 000000006A88: BF800001
	v_max_f32_dpp v26, v46, v46 row_half_mirror row_mask:0xf bank_mask:0xf// 000000006A8C: 16345CFA FF01412E
	v_rcp_f32_e32 v46, v26                                     // 000000006A94: 7E5C451A
	v_mov_b32_e32 v47, 0x43e00000                              // 000000006A98: 7E5E02FF 43E00000
	v_mul_f32_e32 v27, v47, v46                                // 000000006AA0: 0A365D2F
	v_mov_b32_e32 v26, v27                                     // 000000006AA4: 7E34031B
	v_lshlrev_b32_e32 v46, 16, v160                            // 000000006AA8: 245D4090
	v_and_b32_e32 v47, 0xffff0000, v160                        // 000000006AAC: 265F40FF FFFF0000
	v_pk_mul_f32 v[46:47], v[46:47], v[26:27]                  // 000000006AB4: D3B1402E 1802352E
	v_cvt_pk_fp8_f32 v160, v46, v47                            // 000000006ABC: D2A200A0 00025F2E
	v_lshlrev_b32_e32 v46, 16, v161                            // 000000006AC4: 245D4290
	v_and_b32_e32 v47, 0xffff0000, v161                        // 000000006AC8: 265F42FF FFFF0000
	v_pk_mul_f32 v[46:47], v[46:47], v[26:27]                  // 000000006AD0: D3B1402E 1802352E
	v_cvt_pk_fp8_f32 v160, v46, v47 op_sel:[0,0,1]             // 000000006AD8: D2A240A0 00025F2E
	v_lshlrev_b32_e32 v46, 16, v162                            // 000000006AE0: 245D4490
	v_and_b32_e32 v47, 0xffff0000, v162                        // 000000006AE4: 265F44FF FFFF0000
	v_pk_mul_f32 v[46:47], v[46:47], v[26:27]                  // 000000006AEC: D3B1402E 1802352E
	v_cvt_pk_fp8_f32 v161, v46, v47                            // 000000006AF4: D2A200A1 00025F2E
	v_lshlrev_b32_e32 v46, 16, v163                            // 000000006AFC: 245D4690
	v_and_b32_e32 v47, 0xffff0000, v163                        // 000000006B00: 265F46FF FFFF0000
	v_pk_mul_f32 v[46:47], v[46:47], v[26:27]                  // 000000006B08: D3B1402E 1802352E
	v_cvt_pk_fp8_f32 v161, v46, v47 op_sel:[0,0,1]             // 000000006B10: D2A240A1 00025F2E
	v_lshlrev_b32_e32 v46, 16, v164                            // 000000006B18: 245D4890
	v_and_b32_e32 v47, 0xffff0000, v164                        // 000000006B1C: 265F48FF FFFF0000
	v_pk_mul_f32 v[46:47], v[46:47], v[26:27]                  // 000000006B24: D3B1402E 1802352E
	v_cvt_pk_fp8_f32 v162, v46, v47                            // 000000006B2C: D2A200A2 00025F2E
	v_lshlrev_b32_e32 v46, 16, v165                            // 000000006B34: 245D4A90
	v_and_b32_e32 v47, 0xffff0000, v165                        // 000000006B38: 265F4AFF FFFF0000
	v_pk_mul_f32 v[46:47], v[46:47], v[26:27]                  // 000000006B40: D3B1402E 1802352E
	v_cvt_pk_fp8_f32 v162, v46, v47 op_sel:[0,0,1]             // 000000006B48: D2A240A2 00025F2E
	v_lshlrev_b32_e32 v46, 16, v166                            // 000000006B50: 245D4C90
	v_and_b32_e32 v47, 0xffff0000, v166                        // 000000006B54: 265F4CFF FFFF0000
	v_pk_mul_f32 v[46:47], v[46:47], v[26:27]                  // 000000006B5C: D3B1402E 1802352E
	v_cvt_pk_fp8_f32 v163, v46, v47                            // 000000006B64: D2A200A3 00025F2E
	v_lshlrev_b32_e32 v46, 16, v167                            // 000000006B6C: 245D4E90
	v_and_b32_e32 v47, 0xffff0000, v167                        // 000000006B70: 265F4EFF FFFF0000
	v_pk_mul_f32 v[46:47], v[46:47], v[26:27]                  // 000000006B78: D3B1402E 1802352E
	v_cvt_pk_fp8_f32 v163, v46, v47 op_sel:[0,0,1]             // 000000006B80: D2A240A3 00025F2E
	v_lshlrev_b32_e32 v46, 4, v0                               // 000000006B88: 245C0084
	v_add_u32_e64 v46, v46, s50                                // 000000006B8C: D134002E 0000652E
	ds_write_b128 v46, v[160:163]                              // 000000006B94: D9BE0000 0000A02E
	v_rcp_f32_e32 v28, v27                                     // 000000006B9C: 7E38451B
	v_add_u32_e32 v46, 0, v30                                  // 000000006BA0: 685C3C80
	s_mov_b64 s[60:61], exec                                   // 000000006BA4: BEBC017E
	s_mov_b32 s62, 0xf0f0f0f                                   // 000000006BA8: BEBE00FF 0F0F0F0F
	s_mov_b32 s63, 0xf0f0f0f                                   // 000000006BB0: BEBF00FF 0F0F0F0F
	s_mov_b64 exec, s[62:63]                                   // 000000006BB8: BEFE013E
	ds_write_b32 v46, v28 offset:4352                          // 000000006BBC: D81A1100 00001C2E
	s_mov_b64 exec, s[60:61]                                   // 000000006BC4: BEFE013C
	v_mul_f32_dpp v46, v22, v17 row_newbcast:0 row_mask:0xf bank_mask:0xf// 000000006BC8: 0A5C22FA FF015016
	v_mov_b32_e32 v47, v46                                     // 000000006BD0: 7E5E032E
	v_pk_fma_f32 v[64:65], v[144:145], v[46:47], v[64:65]      // 000000006BD4: D3B04040 1D025D90
	v_pk_fma_f32 v[66:67], v[146:147], v[46:47], v[66:67]      // 000000006BDC: D3B04042 1D0A5D92
	v_pk_fma_f32 v[68:69], v[148:149], v[46:47], v[68:69]      // 000000006BE4: D3B04044 1D125D94
	v_pk_fma_f32 v[70:71], v[150:151], v[46:47], v[70:71]      // 000000006BEC: D3B04046 1D1A5D96
	v_mul_f32_dpp v46, v22, v17 row_newbcast:1 row_mask:0xf bank_mask:0xf// 000000006BF4: 0A5C22FA FF015116
	v_mov_b32_e32 v47, v46                                     // 000000006BFC: 7E5E032E
	v_pk_fma_f32 v[72:73], v[152:153], v[46:47], v[72:73]      // 000000006C00: D3B04048 1D225D98
	v_pk_fma_f32 v[74:75], v[154:155], v[46:47], v[74:75]      // 000000006C08: D3B0404A 1D2A5D9A
	v_pk_fma_f32 v[76:77], v[156:157], v[46:47], v[76:77]      // 000000006C10: D3B0404C 1D325D9C
	v_pk_fma_f32 v[78:79], v[158:159], v[46:47], v[78:79]      // 000000006C18: D3B0404E 1D3A5D9E
	s_waitcnt vmcnt(4)                                         // 000000006C20: BF8C0F74
	v_mfma_f32_16x16x128_f8f6f4 v[144:147], a[224:231], v[184:191], 0// 000000006C24: D3AD0090 0A0371E0
	buffer_load_dwordx4 a[96:99], v33, s[92:95], 0 offen offset:2048// 000000006C2C: E05C1800 80976021
	buffer_load_dwordx4 a[100:103], v33, s[92:95], 0 offen offset:3072// 000000006C34: E05C1C00 80976421
	buffer_load_dwordx4 a[104:107], v34, s[92:95], 0 offen offset:2048// 000000006C3C: E05C1800 80976822
	buffer_load_dwordx4 a[108:111], v34, s[92:95], 0 offen offset:3072// 000000006C44: E05C1C00 80976C22
	v_mfma_f32_16x16x128_f8f6f4 v[148:151], a[232:239], v[184:191], 0// 000000006C4C: D3AD0094 0A0371E8
	s_waitcnt lgkmcnt(0)                                       // 000000006C54: BF8CC07F
	s_barrier                                                  // 000000006C58: BF8A0000
	ds_read_b128 v[160:163], v2                                // 000000006C5C: D9FE0000 A0000002
	ds_read_b128 v[164:167], v2 offset:64                      // 000000006C64: D9FE0040 A4000002
	ds_read_b32 v15, v3 offset:4352                            // 000000006C6C: D86C1100 0F000003
	s_waitcnt vmcnt(4)                                         // 000000006C74: BF8C0F74
	v_mfma_f32_16x16x128_f8f6f4 v[152:155], a[240:247], v[184:191], 0// 000000006C78: D3AD0098 0A0371F0
	buffer_load_dwordx4 a[112:115], v35, s[92:95], 0 offen offset:2048// 000000006C80: E05C1800 80977023
	buffer_load_dwordx4 a[116:119], v35, s[92:95], 0 offen offset:3072// 000000006C88: E05C1C00 80977423
	buffer_load_dwordx4 a[120:123], v36, s[92:95], 0 offen offset:2048// 000000006C90: E05C1800 80977824
	buffer_load_dwordx4 a[124:127], v36, s[92:95], 0 offen offset:3072// 000000006C98: E05C1C00 80977C24
	v_mfma_f32_16x16x128_f8f6f4 v[156:159], a[248:255], v[184:191], 0// 000000006CA0: D3AD009C 0A0371F8
	ds_read_b128 v[168:171], v2 offset:512                     // 000000006CA8: D9FE0200 A8000002
	ds_read_b128 v[172:175], v2 offset:576                     // 000000006CB0: D9FE0240 AC000002
	ds_read_b32 v16, v3 offset:4608                            // 000000006CB8: D86C1200 10000003
	v_mul_f32_dpp v46, v22, v18 row_newbcast:2 row_mask:0xf bank_mask:0xf// 000000006CC0: 0A5C24FA FF015216
	v_mov_b32_e32 v47, v46                                     // 000000006CC8: 7E5E032E
	v_pk_fma_f32 v[64:65], v[144:145], v[46:47], v[64:65]      // 000000006CCC: D3B04040 1D025D90
	v_pk_fma_f32 v[66:67], v[146:147], v[46:47], v[66:67]      // 000000006CD4: D3B04042 1D0A5D92
	v_pk_fma_f32 v[68:69], v[148:149], v[46:47], v[68:69]      // 000000006CDC: D3B04044 1D125D94
	v_pk_fma_f32 v[70:71], v[150:151], v[46:47], v[70:71]      // 000000006CE4: D3B04046 1D1A5D96
	v_mul_f32_dpp v46, v22, v18 row_newbcast:3 row_mask:0xf bank_mask:0xf// 000000006CEC: 0A5C24FA FF015316
	v_mov_b32_e32 v47, v46                                     // 000000006CF4: 7E5E032E
	v_pk_fma_f32 v[72:73], v[152:153], v[46:47], v[72:73]      // 000000006CF8: D3B04048 1D225D98
	v_pk_fma_f32 v[74:75], v[154:155], v[46:47], v[74:75]      // 000000006D00: D3B0404A 1D2A5D9A
	v_pk_fma_f32 v[76:77], v[156:157], v[46:47], v[76:77]      // 000000006D08: D3B0404C 1D325D9C
	v_pk_fma_f32 v[78:79], v[158:159], v[46:47], v[78:79]      // 000000006D10: D3B0404E 1D3A5D9E
	s_add_u32 s60, 0x200, s80                                  // 000000006D18: 803C50FF 00000200
	s_cmp_lt_u32 s60, s81                                      // 000000006D20: BF0A513C
	s_cselect_b32 s57, s57, 0                                  // 000000006D24: 85398039
	s_add_u32 s60, 0x200, s80                                  // 000000006D28: 803C50FF 00000200
	s_cmp_lt_u32 s60, s81                                      // 000000006D30: BF0A513C
	s_cselect_b32 s58, s58, 0                                  // 000000006D34: 853A803A
	s_cselect_b32 s90, s90, 0                                  // 000000006D38: 855A805A
	s_add_u32 s20, s57, s20                                    // 000000006D3C: 80141439
	s_addc_u32 s21, 0, s21                                     // 000000006D40: 82151580
	s_add_u32 s24, s58, s24                                    // 000000006D44: 8018183A
	s_addc_u32 s25, 0, s25                                     // 000000006D48: 82191980
	s_add_u32 s92, s90, s92                                    // 000000006D4C: 805C5C5A
	s_addc_u32 s93, 0, s93                                     // 000000006D50: 825D5D80
	s_addk_i32 s80, 0x100                                      // 000000006D54: B7500100
	s_cmp_lt_i32 s80, s81                                      // 000000006D58: BF045150
	s_cbranch_scc0 label_0FD9                                  // 000000006D5C: BF840001
	s_branch label_0CF8                                        // 000000006D60: BF82FD1F

0000000000006d64 <label_0FD9>:
	s_mov_b32 s20, 0                                           // 000000006D64: BE940080
	s_cmp_lt_u32 s89, s66                                      // 000000006D68: BF0A4259
	s_cselect_b32 s60, 0, 1                                    // 000000006D6C: 853C8180
	s_lshl1_add_u32 s20, s20, s60                              // 000000006D70: 97143C14
	s_cmp_lt_u32 s88, s66                                      // 000000006D74: BF0A4258
	s_cselect_b32 s60, 0, 1                                    // 000000006D78: 853C8180
	s_lshl1_add_u32 s20, s20, s60                              // 000000006D7C: 97143C14
	s_cmp_lt_u32 s87, s66                                      // 000000006D80: BF0A4257
	s_cselect_b32 s60, 0, 1                                    // 000000006D84: 853C8180
	s_lshl1_add_u32 s20, s20, s60                              // 000000006D88: 97143C14
	s_cmp_lt_u32 s86, s66                                      // 000000006D8C: BF0A4256
	s_cselect_b32 s60, 0, 1                                    // 000000006D90: 853C8180
	s_lshl1_add_u32 s20, s20, s60                              // 000000006D94: 97143C14
	s_cmp_lt_u32 s85, s66                                      // 000000006D98: BF0A4255
	s_cselect_b32 s60, 0, 1                                    // 000000006D9C: 853C8180
	s_lshl1_add_u32 s20, s20, s60                              // 000000006DA0: 97143C14
	s_cmp_lt_u32 s84, s66                                      // 000000006DA4: BF0A4254
	s_cselect_b32 s60, 0, 1                                    // 000000006DA8: 853C8180
	s_lshl1_add_u32 s20, s20, s60                              // 000000006DAC: 97143C14
	s_cmp_lt_u32 s83, s66                                      // 000000006DB0: BF0A4253
	s_cselect_b32 s60, 0, 1                                    // 000000006DB4: 853C8180
	s_lshl1_add_u32 s20, s20, s60                              // 000000006DB8: 97143C14
	s_cmp_lt_u32 s82, s66                                      // 000000006DBC: BF0A4252
	s_cselect_b32 s60, 0, 1                                    // 000000006DC0: 853C8180
	s_lshl1_add_u32 s20, s20, s60                              // 000000006DC4: 97143C14
	s_waitcnt vmcnt(12)                                        // 000000006DC8: BF8C0F7C
	buffer_load_dword v19, v6, s[16:19], 0 offen               // 000000006DCC: E0501000 80041306
	s_add_u32 s16, s79, s16                                    // 000000006DD4: 8010104F
	s_addc_u32 s17, 0, s17                                     // 000000006DD8: 82111180
	buffer_load_dwordx4 a[0:3], v37, s[12:15], 0 offen         // 000000006DDC: E05C1000 80830025
	buffer_load_dwordx4 a[4:7], v37, s[12:15], 0 offen offset:1024// 000000006DE4: E05C1400 80830425
	buffer_load_dwordx4 a[8:11], v38, s[12:15], 0 offen        // 000000006DEC: E05C1000 80830826
	buffer_load_dwordx4 a[12:15], v38, s[12:15], 0 offen offset:1024// 000000006DF4: E05C1400 80830C26
	v_mul_f32_e64 v46, -v128, s6                               // 000000006DFC: D105002E 20000D80
	v_mul_f32_e64 v47, -v129, s6                               // 000000006E04: D105002F 20000D81
	v_mul_f32_e64 v48, -v130, s6                               // 000000006E0C: D1050030 20000D82
	v_mul_f32_e64 v49, -v131, s6                               // 000000006E14: D1050031 20000D83
	v_exp_f32_e32 v46, v46                                     // 000000006E1C: 7E5C412E
	v_exp_f32_e32 v47, v47                                     // 000000006E20: 7E5E412F
	v_exp_f32_e32 v48, v48                                     // 000000006E24: 7E604130
	v_exp_f32_e32 v49, v49                                     // 000000006E28: 7E624131
	buffer_load_dwordx4 a[16:19], v39, s[12:15], 0 offen       // 000000006E2C: E05C1000 80831027
	buffer_load_dwordx4 a[20:23], v39, s[12:15], 0 offen offset:1024// 000000006E34: E05C1400 80831427
	buffer_load_dwordx4 a[24:27], v40, s[12:15], 0 offen       // 000000006E3C: E05C1000 80831828
	buffer_load_dwordx4 a[28:31], v40, s[12:15], 0 offen offset:1024// 000000006E44: E05C1400 80831C28
	s_add_u32 s12, s78, s12                                    // 000000006E4C: 800C0C4E
	s_addc_u32 s13, 0, s13                                     // 000000006E50: 820D0D80
	v_add_f32_e64 v46, v46, 1.0                                // 000000006E54: D101002E 0001E52E
	v_add_f32_e64 v47, v47, 1.0                                // 000000006E5C: D101002F 0001E52F
	v_add_f32_e64 v48, v48, 1.0                                // 000000006E64: D1010030 0001E530
	v_add_f32_e64 v49, v49, 1.0                                // 000000006E6C: D1010031 0001E531
	v_rcp_f32_e32 v46, v46                                     // 000000006E74: 7E5C452E
	v_rcp_f32_e32 v47, v47                                     // 000000006E78: 7E5E452F
	v_rcp_f32_e32 v48, v48                                     // 000000006E7C: 7E604530
	v_rcp_f32_e32 v49, v49                                     // 000000006E80: 7E624531
	v_mul_f32_e32 v128, v128, v46                              // 000000006E84: 0B005D80
	v_mul_f32_e32 v129, v129, v47                              // 000000006E88: 0B025F81
	v_mul_f32_e32 v130, v130, v48                              // 000000006E8C: 0B046182
	v_mul_f32_e32 v131, v131, v49                              // 000000006E90: 0B066383
	v_mul_f32_e32 v128, v128, v64                              // 000000006E94: 0B008180
	v_mul_f32_e32 v129, v129, v65                              // 000000006E98: 0B028381
	v_mul_f32_e32 v130, v130, v66                              // 000000006E9C: 0B048582
	v_mul_f32_e32 v131, v131, v67                              // 000000006EA0: 0B068783
	s_waitcnt vmcnt(12)                                        // 000000006EA4: BF8C0F7C
	buffer_load_dwordx4 a[32:35], v37, s[12:15], 0 offen       // 000000006EA8: E05C1000 80832025
	buffer_load_dwordx4 a[36:39], v37, s[12:15], 0 offen offset:1024// 000000006EB0: E05C1400 80832425
	buffer_load_dwordx4 a[40:43], v38, s[12:15], 0 offen       // 000000006EB8: E05C1000 80832826
	buffer_load_dwordx4 a[44:47], v38, s[12:15], 0 offen offset:1024// 000000006EC0: E05C1400 80832C26
	v_mul_f32_e64 v46, -v132, s6                               // 000000006EC8: D105002E 20000D84
	v_mul_f32_e64 v47, -v133, s6                               // 000000006ED0: D105002F 20000D85
	v_mul_f32_e64 v48, -v134, s6                               // 000000006ED8: D1050030 20000D86
	v_mul_f32_e64 v49, -v135, s6                               // 000000006EE0: D1050031 20000D87
	v_exp_f32_e32 v46, v46                                     // 000000006EE8: 7E5C412E
	v_exp_f32_e32 v47, v47                                     // 000000006EEC: 7E5E412F
	v_exp_f32_e32 v48, v48                                     // 000000006EF0: 7E604130
	v_exp_f32_e32 v49, v49                                     // 000000006EF4: 7E624131
	buffer_load_dwordx4 a[48:51], v39, s[12:15], 0 offen       // 000000006EF8: E05C1000 80833027
	buffer_load_dwordx4 a[52:55], v39, s[12:15], 0 offen offset:1024// 000000006F00: E05C1400 80833427
	buffer_load_dwordx4 a[56:59], v40, s[12:15], 0 offen       // 000000006F08: E05C1000 80833828
	buffer_load_dwordx4 a[60:63], v40, s[12:15], 0 offen offset:1024// 000000006F10: E05C1400 80833C28
	s_add_u32 s12, s56, s12                                    // 000000006F18: 800C0C38
	s_addc_u32 s13, 0, s13                                     // 000000006F1C: 820D0D80
	v_add_f32_e64 v46, v46, 1.0                                // 000000006F20: D101002E 0001E52E
	v_add_f32_e64 v47, v47, 1.0                                // 000000006F28: D101002F 0001E52F
	v_add_f32_e64 v48, v48, 1.0                                // 000000006F30: D1010030 0001E530
	v_add_f32_e64 v49, v49, 1.0                                // 000000006F38: D1010031 0001E531
	v_rcp_f32_e32 v46, v46                                     // 000000006F40: 7E5C452E
	v_rcp_f32_e32 v47, v47                                     // 000000006F44: 7E5E452F
	v_rcp_f32_e32 v48, v48                                     // 000000006F48: 7E604530
	v_rcp_f32_e32 v49, v49                                     // 000000006F4C: 7E624531
	v_mul_f32_e32 v132, v132, v46                              // 000000006F50: 0B085D84
	v_mul_f32_e32 v133, v133, v47                              // 000000006F54: 0B0A5F85
	v_mul_f32_e32 v134, v134, v48                              // 000000006F58: 0B0C6186
	v_mul_f32_e32 v135, v135, v49                              // 000000006F5C: 0B0E6387
	v_mul_f32_e32 v132, v132, v68                              // 000000006F60: 0B088984
	v_mul_f32_e32 v133, v133, v69                              // 000000006F64: 0B0A8B85
	v_mul_f32_e32 v134, v134, v70                              // 000000006F68: 0B0C8D86
	v_mul_f32_e32 v135, v135, v71                              // 000000006F6C: 0B0E8F87
	s_waitcnt vmcnt(12)                                        // 000000006F70: BF8C0F7C
	buffer_load_dword v20, v6, s[16:19], 0 offen               // 000000006F74: E0501000 80041406
	s_add_u32 s16, s79, s16                                    // 000000006F7C: 8010104F
	s_addc_u32 s17, 0, s17                                     // 000000006F80: 82111180
	buffer_load_dwordx4 a[64:67], v37, s[12:15], 0 offen       // 000000006F84: E05C1000 80834025
	buffer_load_dwordx4 a[68:71], v37, s[12:15], 0 offen offset:1024// 000000006F8C: E05C1400 80834425
	buffer_load_dwordx4 a[72:75], v38, s[12:15], 0 offen       // 000000006F94: E05C1000 80834826
	buffer_load_dwordx4 a[76:79], v38, s[12:15], 0 offen offset:1024// 000000006F9C: E05C1400 80834C26
	v_mul_f32_e64 v46, -v136, s6                               // 000000006FA4: D105002E 20000D88
	v_mul_f32_e64 v47, -v137, s6                               // 000000006FAC: D105002F 20000D89
	v_mul_f32_e64 v48, -v138, s6                               // 000000006FB4: D1050030 20000D8A
	v_mul_f32_e64 v49, -v139, s6                               // 000000006FBC: D1050031 20000D8B
	v_exp_f32_e32 v46, v46                                     // 000000006FC4: 7E5C412E
	v_exp_f32_e32 v47, v47                                     // 000000006FC8: 7E5E412F
	v_exp_f32_e32 v48, v48                                     // 000000006FCC: 7E604130
	v_exp_f32_e32 v49, v49                                     // 000000006FD0: 7E624131
	buffer_load_dwordx4 a[80:83], v39, s[12:15], 0 offen       // 000000006FD4: E05C1000 80835027
	buffer_load_dwordx4 a[84:87], v39, s[12:15], 0 offen offset:1024// 000000006FDC: E05C1400 80835427
	buffer_load_dwordx4 a[88:91], v40, s[12:15], 0 offen       // 000000006FE4: E05C1000 80835828
	buffer_load_dwordx4 a[92:95], v40, s[12:15], 0 offen offset:1024// 000000006FEC: E05C1400 80835C28
	s_add_u32 s12, s78, s12                                    // 000000006FF4: 800C0C4E
	s_addc_u32 s13, 0, s13                                     // 000000006FF8: 820D0D80
	v_add_f32_e64 v46, v46, 1.0                                // 000000006FFC: D101002E 0001E52E
	v_add_f32_e64 v47, v47, 1.0                                // 000000007004: D101002F 0001E52F
	v_add_f32_e64 v48, v48, 1.0                                // 00000000700C: D1010030 0001E530
	v_add_f32_e64 v49, v49, 1.0                                // 000000007014: D1010031 0001E531
	v_rcp_f32_e32 v46, v46                                     // 00000000701C: 7E5C452E
	v_rcp_f32_e32 v47, v47                                     // 000000007020: 7E5E452F
	v_rcp_f32_e32 v48, v48                                     // 000000007024: 7E604530
	v_rcp_f32_e32 v49, v49                                     // 000000007028: 7E624531
	v_mul_f32_e32 v136, v136, v46                              // 00000000702C: 0B105D88
	v_mul_f32_e32 v137, v137, v47                              // 000000007030: 0B125F89
	v_mul_f32_e32 v138, v138, v48                              // 000000007034: 0B14618A
	v_mul_f32_e32 v139, v139, v49                              // 000000007038: 0B16638B
	v_mul_f32_e32 v136, v136, v72                              // 00000000703C: 0B109188
	v_mul_f32_e32 v137, v137, v73                              // 000000007040: 0B129389
	v_mul_f32_e32 v138, v138, v74                              // 000000007044: 0B14958A
	v_mul_f32_e32 v139, v139, v75                              // 000000007048: 0B16978B
	s_waitcnt vmcnt(12)                                        // 00000000704C: BF8C0F7C
	buffer_load_dwordx4 a[96:99], v37, s[12:15], 0 offen       // 000000007050: E05C1000 80836025
	buffer_load_dwordx4 a[100:103], v37, s[12:15], 0 offen offset:1024// 000000007058: E05C1400 80836425
	buffer_load_dwordx4 a[104:107], v38, s[12:15], 0 offen     // 000000007060: E05C1000 80836826
	buffer_load_dwordx4 a[108:111], v38, s[12:15], 0 offen offset:1024// 000000007068: E05C1400 80836C26
	v_mul_f32_e64 v46, -v140, s6                               // 000000007070: D105002E 20000D8C
	v_mul_f32_e64 v47, -v141, s6                               // 000000007078: D105002F 20000D8D
	v_mul_f32_e64 v48, -v142, s6                               // 000000007080: D1050030 20000D8E
	v_mul_f32_e64 v49, -v143, s6                               // 000000007088: D1050031 20000D8F
	v_exp_f32_e32 v46, v46                                     // 000000007090: 7E5C412E
	v_exp_f32_e32 v47, v47                                     // 000000007094: 7E5E412F
	v_exp_f32_e32 v48, v48                                     // 000000007098: 7E604130
	v_exp_f32_e32 v49, v49                                     // 00000000709C: 7E624131
	buffer_load_dwordx4 a[112:115], v39, s[12:15], 0 offen     // 0000000070A0: E05C1000 80837027
	buffer_load_dwordx4 a[116:119], v39, s[12:15], 0 offen offset:1024// 0000000070A8: E05C1400 80837427
	buffer_load_dwordx4 a[120:123], v40, s[12:15], 0 offen     // 0000000070B0: E05C1000 80837828
	buffer_load_dwordx4 a[124:127], v40, s[12:15], 0 offen offset:1024// 0000000070B8: E05C1400 80837C28
	s_add_u32 s12, s56, s12                                    // 0000000070C0: 800C0C38
	s_addc_u32 s13, 0, s13                                     // 0000000070C4: 820D0D80
	v_add_f32_e64 v46, v46, 1.0                                // 0000000070C8: D101002E 0001E52E
	v_add_f32_e64 v47, v47, 1.0                                // 0000000070D0: D101002F 0001E52F
	v_add_f32_e64 v48, v48, 1.0                                // 0000000070D8: D1010030 0001E530
	v_add_f32_e64 v49, v49, 1.0                                // 0000000070E0: D1010031 0001E531
	v_rcp_f32_e32 v46, v46                                     // 0000000070E8: 7E5C452E
	v_rcp_f32_e32 v47, v47                                     // 0000000070EC: 7E5E452F
	v_rcp_f32_e32 v48, v48                                     // 0000000070F0: 7E604530
	v_rcp_f32_e32 v49, v49                                     // 0000000070F4: 7E624531
	v_mul_f32_e32 v140, v140, v46                              // 0000000070F8: 0B185D8C
	v_mul_f32_e32 v141, v141, v47                              // 0000000070FC: 0B1A5F8D
	v_mul_f32_e32 v142, v142, v48                              // 000000007100: 0B1C618E
	v_mul_f32_e32 v143, v143, v49                              // 000000007104: 0B1E638F
	v_mul_f32_e32 v140, v140, v76                              // 000000007108: 0B18998C
	v_mul_f32_e32 v141, v141, v77                              // 00000000710C: 0B1A9B8D
	v_mul_f32_e32 v142, v142, v78                              // 000000007110: 0B1C9D8E
	v_mul_f32_e32 v143, v143, v79                              // 000000007114: 0B1E9F8F
	v_lshlrev_b32_e32 v46, 2, v0                               // 000000007118: 245C0082
	s_mul_i32 s60, s82, s71                                    // 00000000711C: 923C4752
	v_add_u32_e64 v80, v46, s60                                // 000000007120: D1340050 0000792E
	v_mov_b32_e32 v81, 0                                       // 000000007128: 7EA20280
	s_mul_i32 s60, s83, s71                                    // 00000000712C: 923C4753
	v_add_u32_e64 v82, v46, s60                                // 000000007130: D1340052 0000792E
	v_mov_b32_e32 v83, 0                                       // 000000007138: 7EA60280
	s_mul_i32 s60, s84, s71                                    // 00000000713C: 923C4754
	v_add_u32_e64 v84, v46, s60                                // 000000007140: D1340054 0000792E
	v_mov_b32_e32 v85, 0                                       // 000000007148: 7EAA0280
	s_mul_i32 s60, s85, s71                                    // 00000000714C: 923C4755
	v_add_u32_e64 v86, v46, s60                                // 000000007150: D1340056 0000792E
	v_mov_b32_e32 v87, 0                                       // 000000007158: 7EAE0280
	v_mov_b32_e32 v26, 0x358637bd                              // 00000000715C: 7E3402FF 358637BD
	v_max3_f32 v26, |v128|, |v129|, v26                        // 000000007164: D1D3031A 046B0380
	v_max3_f32 v26, |v130|, |v131|, v26                        // 00000000716C: D1D3031A 046B0782
	v_max3_f32 v26, |v132|, |v133|, v26                        // 000000007174: D1D3031A 046B0B84
	v_max3_f32 v26, |v134|, |v135|, v26                        // 00000000717C: D1D3031A 046B0F86
	v_mov_b32_e32 v46, v26                                     // 000000007184: 7E5C031A
	s_nop 1                                                    // 000000007188: BF800001
	v_permlane32_swap_b32_e32 v46, v26                         // 00000000718C: 7E5CB51A
	v_max_f32_e32 v26, v46, v26                                // 000000007190: 1634352E
	v_mov_b32_e32 v46, v26                                     // 000000007194: 7E5C031A
	s_nop 1                                                    // 000000007198: BF800001
	v_permlane16_swap_b32_e32 v46, v26                         // 00000000719C: 7E5CB31A
	v_max_f32_e32 v26, v46, v26                                // 0000000071A0: 1634352E
	v_lshlrev_b32_e32 v46, 2, v0                               // 0000000071A4: 245C0082
	s_mul_i32 s60, 64, s7                                      // 0000000071A8: 923C07C0
	v_add_u32_e32 v46, s60, v46                                // 0000000071AC: 685C5C3C
	s_mov_b32 s60, 0xffff                                      // 0000000071B0: BEBC00FF 0000FFFF
	s_mov_b32 s61, 0                                           // 0000000071B8: BEBD0080
	s_mov_b64 exec, s[60:61]                                   // 0000000071BC: BEFE013C
	ds_write_b32 v46, v26 offset:10752                         // 0000000071C0: D81A2A00 00001A2E
	s_mov_b32 s60, -1                                          // 0000000071C8: BEBC00C1
	s_mov_b32 s61, -1                                          // 0000000071CC: BEBD00C1
	s_mov_b64 exec, s[60:61]                                   // 0000000071D0: BEFE013C
	s_waitcnt lgkmcnt(0)                                       // 0000000071D4: BF8CC07F
	s_barrier                                                  // 0000000071D8: BF8A0000
	v_lshlrev_b32_e32 v46, 2, v0                               // 0000000071DC: 245C0082
	ds_read_b32 v144, v46 offset:10752                         // 0000000071E0: D86C2A00 9000002E
	s_waitcnt lgkmcnt(0)                                       // 0000000071E8: BF8CC07F
	v_mov_b32_e32 v46, v144                                    // 0000000071EC: 7E5C0390
	s_nop 1                                                    // 0000000071F0: BF800001
	v_permlane32_swap_b32_e32 v46, v144                        // 0000000071F4: 7E5CB590
	v_max_f32_e32 v144, v46, v144                              // 0000000071F8: 1721212E
	v_mov_b32_e32 v46, v144                                    // 0000000071FC: 7E5C0390
	s_nop 1                                                    // 000000007200: BF800001
	v_permlane16_swap_b32_e32 v46, v144                        // 000000007204: 7E5CB390
	v_max_f32_e32 v144, v46, v144                              // 000000007208: 1721212E
	v_max_f32_e32 v26, v144, v26                               // 00000000720C: 16343590
	v_rcp_f32_e32 v26, v26                                     // 000000007210: 7E34451A
	v_mov_b32_e32 v46, 0x43e00000                              // 000000007214: 7E5C02FF 43E00000
	v_mul_f32_e32 v26, v46, v26                                // 00000000721C: 0A34352E
	v_mul_f32_e32 v128, v26, v128                              // 000000007220: 0B01011A
	v_mul_f32_e32 v129, v26, v129                              // 000000007224: 0B03031A
	v_mul_f32_e32 v130, v26, v130                              // 000000007228: 0B05051A
	v_mul_f32_e32 v131, v26, v131                              // 00000000722C: 0B07071A
	v_cvt_pk_fp8_f32 v128, v128, v129                          // 000000007230: D2A20080 00030380
	v_cvt_pk_fp8_f32 v128, v130, v131 op_sel:[0,0,1]           // 000000007238: D2A24080 00030782
	v_mul_f32_e32 v132, v26, v132                              // 000000007240: 0B09091A
	v_mul_f32_e32 v133, v26, v133                              // 000000007244: 0B0B0B1A
	v_mul_f32_e32 v134, v26, v134                              // 000000007248: 0B0D0D1A
	v_mul_f32_e32 v135, v26, v135                              // 00000000724C: 0B0F0F1A
	v_cvt_pk_fp8_f32 v129, v132, v133                          // 000000007250: D2A20081 00030B84
	v_cvt_pk_fp8_f32 v129, v134, v135 op_sel:[0,0,1]           // 000000007258: D2A24081 00030F86
	v_rcp_f32_e32 v28, v26                                     // 000000007260: 7E38451A
	v_nop                                                      // 000000007264: 7E000000
	v_mov_b32_e32 v26, 0x358637bd                              // 000000007268: 7E3402FF 358637BD
	v_max3_f32 v26, |v136|, |v137|, v26                        // 000000007270: D1D3031A 046B1388
	v_max3_f32 v26, |v138|, |v139|, v26                        // 000000007278: D1D3031A 046B178A
	v_max3_f32 v26, |v140|, |v141|, v26                        // 000000007280: D1D3031A 046B1B8C
	v_max3_f32 v26, |v142|, |v143|, v26                        // 000000007288: D1D3031A 046B1F8E
	v_mov_b32_e32 v46, v26                                     // 000000007290: 7E5C031A
	s_nop 1                                                    // 000000007294: BF800001
	v_permlane32_swap_b32_e32 v46, v26                         // 000000007298: 7E5CB51A
	v_max_f32_e32 v26, v46, v26                                // 00000000729C: 1634352E
	v_mov_b32_e32 v46, v26                                     // 0000000072A0: 7E5C031A
	s_nop 1                                                    // 0000000072A4: BF800001
	v_permlane16_swap_b32_e32 v46, v26                         // 0000000072A8: 7E5CB31A
	v_max_f32_e32 v26, v46, v26                                // 0000000072AC: 1634352E
	v_lshlrev_b32_e32 v46, 2, v0                               // 0000000072B0: 245C0082
	s_mul_i32 s60, 64, s7                                      // 0000000072B4: 923C07C0
	v_add_u32_e32 v46, s60, v46                                // 0000000072B8: 685C5C3C
	s_mov_b32 s60, 0xffff                                      // 0000000072BC: BEBC00FF 0000FFFF
	s_mov_b32 s61, 0                                           // 0000000072C4: BEBD0080
	s_mov_b64 exec, s[60:61]                                   // 0000000072C8: BEFE013C
	ds_write_b32 v46, v26 offset:10752                         // 0000000072CC: D81A2A00 00001A2E
	s_mov_b32 s60, -1                                          // 0000000072D4: BEBC00C1
	s_mov_b32 s61, -1                                          // 0000000072D8: BEBD00C1
	s_mov_b64 exec, s[60:61]                                   // 0000000072DC: BEFE013C
	s_waitcnt lgkmcnt(0)                                       // 0000000072E0: BF8CC07F
	s_barrier                                                  // 0000000072E4: BF8A0000
	v_lshlrev_b32_e32 v46, 2, v0                               // 0000000072E8: 245C0082
	ds_read_b32 v144, v46 offset:10752                         // 0000000072EC: D86C2A00 9000002E
	s_waitcnt lgkmcnt(0)                                       // 0000000072F4: BF8CC07F
	v_mov_b32_e32 v46, v144                                    // 0000000072F8: 7E5C0390
	s_nop 1                                                    // 0000000072FC: BF800001
	v_permlane32_swap_b32_e32 v46, v144                        // 000000007300: 7E5CB590
	v_max_f32_e32 v144, v46, v144                              // 000000007304: 1721212E
	v_mov_b32_e32 v46, v144                                    // 000000007308: 7E5C0390
	s_nop 1                                                    // 00000000730C: BF800001
	v_permlane16_swap_b32_e32 v46, v144                        // 000000007310: 7E5CB390
	v_max_f32_e32 v144, v46, v144                              // 000000007314: 1721212E
	v_max_f32_e32 v26, v144, v26                               // 000000007318: 16343590
	v_rcp_f32_e32 v26, v26                                     // 00000000731C: 7E34451A
	v_mov_b32_e32 v46, 0x43e00000                              // 000000007320: 7E5C02FF 43E00000
	v_mul_f32_e32 v26, v46, v26                                // 000000007328: 0A34352E
	v_mul_f32_e32 v136, v26, v136                              // 00000000732C: 0B11111A
	v_mul_f32_e32 v137, v26, v137                              // 000000007330: 0B13131A
	v_mul_f32_e32 v138, v26, v138                              // 000000007334: 0B15151A
	v_mul_f32_e32 v139, v26, v139                              // 000000007338: 0B17171A
	v_cvt_pk_fp8_f32 v130, v136, v137                          // 00000000733C: D2A20082 00031388
	v_cvt_pk_fp8_f32 v130, v138, v139 op_sel:[0,0,1]           // 000000007344: D2A24082 0003178A
	v_mul_f32_e32 v140, v26, v140                              // 00000000734C: 0B19191A
	v_mul_f32_e32 v141, v26, v141                              // 000000007350: 0B1B1B1A
	v_mul_f32_e32 v142, v26, v142                              // 000000007354: 0B1D1D1A
	v_mul_f32_e32 v143, v26, v143                              // 000000007358: 0B1F1F1A
	v_cvt_pk_fp8_f32 v131, v140, v141                          // 00000000735C: D2A20083 00031B8C
	v_cvt_pk_fp8_f32 v131, v142, v143 op_sel:[0,0,1]           // 000000007364: D2A24083 00031F8E
	v_rcp_f32_e32 v29, v26                                     // 00000000736C: 7E3A451A
	v_nop                                                      // 000000007370: 7E000000
	v_lshrrev_b32_e32 v46, 5, v0                               // 000000007374: 205C0085
	v_lshlrev_b32_e32 v47, 6, v46                              // 000000007378: 245E5C86
	v_and_b32_e32 v46, 31, v0                                  // 00000000737C: 265C009F
	v_lshrrev_b32_e32 v48, 4, v46                              // 000000007380: 20605C84
	v_add_u32_e32 v47, v48, v47                                // 000000007384: 685E5F30
	v_and_b32_e32 v46, 15, v0                                  // 000000007388: 265C008F
	v_lshlrev_b32_e32 v46, 1, v46                              // 00000000738C: 245C5C81
	v_add_u32_e32 v47, v46, v47                                // 000000007390: 685E5F2E
	v_lshlrev_b32_e32 v46, 2, v47                              // 000000007394: 245C5E82
	s_mov_b32 s60, 0                                           // 000000007398: BEBC0080
	s_lshr_b32 s61, s7, 1                                      // 00000000739C: 8F3D8107
	s_mul_i32 s61, s61, 0x200                                  // 0000000073A0: 923DFF3D 00000200
	s_add_u32 s60, s61, s60                                    // 0000000073A8: 803C3C3D
	s_and_b32 s61, s7, 1                                       // 0000000073AC: 863D8107
	s_mul_i32 s61, s61, 0x80                                   // 0000000073B0: 923DFF3D 00000080
	s_add_u32 s60, s61, s60                                    // 0000000073B8: 803C3C3D
	v_add_u32_e64 v46, v46, s60                                // 0000000073BC: D134002E 0000792E
	ds_write_b32 v46, v128 offset:11776                        // 0000000073C4: D81A2E00 0000802E
	ds_write_b32 v46, v129 offset:12800                        // 0000000073CC: D81A3200 0000812E
	ds_write_b32 v46, v130 offset:13824                        // 0000000073D4: D81A3600 0000822E
	ds_write_b32 v46, v131 offset:14848                        // 0000000073DC: D81A3A00 0000832E
	s_waitcnt lgkmcnt(0)                                       // 0000000073E4: BF8CC07F
	s_barrier                                                  // 0000000073E8: BF8A0000
	v_and_b32_e32 v46, 31, v0                                  // 0000000073EC: 265C009F
	v_lshrrev_b32_e32 v46, 4, v46                              // 0000000073F0: 205C5C84
	v_lshlrev_b32_e32 v47, 5, v46                              // 0000000073F4: 245E5C85
	v_lshrrev_b32_e32 v46, 5, v0                               // 0000000073F8: 205C0085
	v_lshlrev_b32_e32 v46, 7, v46                              // 0000000073FC: 245C5C87
	v_add_u32_e32 v47, v46, v47                                // 000000007400: 685E5F2E
	v_and_b32_e32 v46, 15, v0                                  // 000000007404: 265C008F
	v_lshlrev_b32_e32 v46, 1, v46                              // 000000007408: 245C5C81
	v_add_u32_e32 v47, v46, v47                                // 00000000740C: 685E5F2E
	v_lshlrev_b32_e32 v46, 2, v47                              // 000000007410: 245C5E82
	ds_read_b64 v[128:129], v46 offset:11776                   // 000000007414: D8EC2E00 8000002E
	ds_read_b64 v[130:131], v46 offset:12032                   // 00000000741C: D8EC2F00 8200002E
	ds_read_b64 v[132:133], v46 offset:12800                   // 000000007424: D8EC3200 8400002E
	ds_read_b64 v[134:135], v46 offset:13056                   // 00000000742C: D8EC3300 8600002E
	ds_read_b64 v[136:137], v46 offset:13824                   // 000000007434: D8EC3600 8800002E
	ds_read_b64 v[138:139], v46 offset:14080                   // 00000000743C: D8EC3700 8A00002E
	ds_read_b64 v[140:141], v46 offset:14848                   // 000000007444: D8EC3A00 8C00002E
	ds_read_b64 v[142:143], v46 offset:15104                   // 00000000744C: D8EC3B00 8E00002E
	s_waitcnt lgkmcnt(0)                                       // 000000007454: BF8CC07F
	s_barrier                                                  // 000000007458: BF8A0000
	v_mov_b32_e32 v160, 0                                      // 00000000745C: 7F400280
	v_mov_b32_e32 v176, 0                                      // 000000007460: 7F600280
	v_mov_b32_e32 v161, 0                                      // 000000007464: 7F420280
	v_mov_b32_e32 v177, 0                                      // 000000007468: 7F620280
	v_mov_b32_e32 v162, 0                                      // 00000000746C: 7F440280
	v_mov_b32_e32 v178, 0                                      // 000000007470: 7F640280
	v_mov_b32_e32 v163, 0                                      // 000000007474: 7F460280
	v_mov_b32_e32 v179, 0                                      // 000000007478: 7F660280
	v_mov_b32_e32 v164, 0                                      // 00000000747C: 7F480280
	v_mov_b32_e32 v180, 0                                      // 000000007480: 7F680280
	v_mov_b32_e32 v165, 0                                      // 000000007484: 7F4A0280
	v_mov_b32_e32 v181, 0                                      // 000000007488: 7F6A0280
	v_mov_b32_e32 v166, 0                                      // 00000000748C: 7F4C0280
	v_mov_b32_e32 v182, 0                                      // 000000007490: 7F6C0280
	v_mov_b32_e32 v167, 0                                      // 000000007494: 7F4E0280
	v_mov_b32_e32 v183, 0                                      // 000000007498: 7F6E0280
	v_mov_b32_e32 v168, 0                                      // 00000000749C: 7F500280
	v_mov_b32_e32 v184, 0                                      // 0000000074A0: 7F700280
	v_mov_b32_e32 v169, 0                                      // 0000000074A4: 7F520280
	v_mov_b32_e32 v185, 0                                      // 0000000074A8: 7F720280
	v_mov_b32_e32 v170, 0                                      // 0000000074AC: 7F540280
	v_mov_b32_e32 v186, 0                                      // 0000000074B0: 7F740280
	v_mov_b32_e32 v171, 0                                      // 0000000074B4: 7F560280
	v_mov_b32_e32 v187, 0                                      // 0000000074B8: 7F760280
	v_mov_b32_e32 v172, 0                                      // 0000000074BC: 7F580280
	v_mov_b32_e32 v188, 0                                      // 0000000074C0: 7F780280
	v_mov_b32_e32 v173, 0                                      // 0000000074C4: 7F5A0280
	v_mov_b32_e32 v189, 0                                      // 0000000074C8: 7F7A0280
	v_mov_b32_e32 v174, 0                                      // 0000000074CC: 7F5C0280
	v_mov_b32_e32 v190, 0                                      // 0000000074D0: 7F7C0280
	v_mov_b32_e32 v175, 0                                      // 0000000074D4: 7F5E0280
	v_mov_b32_e32 v191, 0                                      // 0000000074D8: 7F7E0280
	ds_write_b64 v4, v[160:161] offset:11776                   // 0000000074DC: D89A2E00 0000A004
	ds_write_b64 v4, v[162:163] offset:13952                   // 0000000074E4: D89A3680 0000A204
	ds_write_b64 v4, v[164:165] offset:16128                   // 0000000074EC: D89A3F00 0000A404
	ds_write_b64 v4, v[166:167] offset:18304                   // 0000000074F4: D89A4780 0000A604
	s_mov_b32 s80, 0                                           // 0000000074FC: BED00080

0000000000007500 <label_11C0>:
	s_waitcnt vmcnt(29) lgkmcnt(0)                             // 000000007500: BF8C407D
	s_barrier                                                  // 000000007504: BF8A0000
	v_mfma_f32_16x16x128_f8f6f4 v[160:163], a[0:7], v[128:135], 0// 000000007508: D3AD00A0 0A030100
	buffer_load_dword v21, v6, s[16:19], 0 offen               // 000000007510: E0501000 80041506
	buffer_load_dwordx4 a[128:131], v37, s[12:15], 0 offen     // 000000007518: E05C1000 80838025
	buffer_load_dwordx4 a[132:135], v37, s[12:15], 0 offen offset:1024// 000000007520: E05C1400 80838425
	buffer_load_dwordx4 a[136:139], v38, s[12:15], 0 offen     // 000000007528: E05C1000 80838826
	buffer_load_dwordx4 a[140:143], v38, s[12:15], 0 offen offset:1024// 000000007530: E05C1400 80838C26
	v_mfma_f32_16x16x128_f8f6f4 v[164:167], a[8:15], v[128:135], 0// 000000007538: D3AD00A4 0A030108
	ds_read_b32 v64, v5 offset:11776                           // 000000007540: D86C2E00 40000005
	ds_read_b32 v65, v5 offset:16128                           // 000000007548: D86C3F00 41000005
	ds_read_b32 v66, v5 offset:11784                           // 000000007550: D86C2E08 42000005
	ds_read_b32 v67, v5 offset:16136                           // 000000007558: D86C3F08 43000005
	ds_read_b32 v68, v5 offset:11808                           // 000000007560: D86C2E20 44000005
	ds_read_b32 v69, v5 offset:16160                           // 000000007568: D86C3F20 45000005
	ds_read_b32 v70, v5 offset:11816                           // 000000007570: D86C2E28 46000005
	ds_read_b32 v71, v5 offset:16168                           // 000000007578: D86C3F28 47000005
	s_waitcnt vmcnt(29)                                        // 000000007580: BF8C4F7D
	v_mfma_f32_16x16x128_f8f6f4 v[168:171], a[16:23], v[128:135], 0// 000000007584: D3AD00A8 0A030110
	buffer_load_dwordx4 a[144:147], v39, s[12:15], 0 offen     // 00000000758C: E05C1000 80839027
	buffer_load_dwordx4 a[148:151], v39, s[12:15], 0 offen offset:1024// 000000007594: E05C1400 80839427
	buffer_load_dwordx4 a[152:155], v40, s[12:15], 0 offen     // 00000000759C: E05C1000 80839828
	buffer_load_dwordx4 a[156:159], v40, s[12:15], 0 offen offset:1024// 0000000075A4: E05C1400 80839C28
	s_add_u32 s12, s78, s12                                    // 0000000075AC: 800C0C4E
	s_addc_u32 s13, 0, s13                                     // 0000000075B0: 820D0D80
	v_mfma_f32_16x16x128_f8f6f4 v[172:175], a[24:31], v[128:135], 0// 0000000075B4: D3AD00AC 0A030118
	v_mul_f32_dpp v46, v19, v28 row_newbcast:0 row_mask:0xf bank_mask:0xf// 0000000075BC: 0A5C38FA FF015013
	v_mov_b32_e32 v47, v46                                     // 0000000075C4: 7E5E032E
	v_pk_mul_f32 v[160:161], v[46:47], v[160:161]              // 0000000075C8: D3B140A0 1803412E
	v_pk_mul_f32 v[162:163], v[46:47], v[162:163]              // 0000000075D0: D3B140A2 1803452E
	v_pk_mul_f32 v[164:165], v[46:47], v[164:165]              // 0000000075D8: D3B140A4 1803492E
	v_pk_mul_f32 v[166:167], v[46:47], v[166:167]              // 0000000075E0: D3B140A6 18034D2E
	v_mul_f32_dpp v46, v19, v28 row_newbcast:1 row_mask:0xf bank_mask:0xf// 0000000075E8: 0A5C38FA FF015113
	v_mov_b32_e32 v47, v46                                     // 0000000075F0: 7E5E032E
	v_pk_mul_f32 v[168:169], v[46:47], v[168:169]              // 0000000075F4: D3B140A8 1803512E
	v_pk_mul_f32 v[170:171], v[46:47], v[170:171]              // 0000000075FC: D3B140AA 1803552E
	v_pk_mul_f32 v[172:173], v[46:47], v[172:173]              // 000000007604: D3B140AC 1803592E
	v_pk_mul_f32 v[174:175], v[46:47], v[174:175]              // 00000000760C: D3B140AE 18035D2E
	s_waitcnt vmcnt(29)                                        // 000000007614: BF8C4F7D
	v_mfma_f32_16x16x128_f8f6f4 v[144:147], a[32:39], v[136:143], 0// 000000007618: D3AD0090 0A031120
	buffer_load_dwordx4 a[160:163], v37, s[12:15], 0 offen     // 000000007620: E05C1000 8083A025
	buffer_load_dwordx4 a[164:167], v37, s[12:15], 0 offen offset:1024// 000000007628: E05C1400 8083A425
	buffer_load_dwordx4 a[168:171], v38, s[12:15], 0 offen     // 000000007630: E05C1000 8083A826
	buffer_load_dwordx4 a[172:175], v38, s[12:15], 0 offen offset:1024// 000000007638: E05C1400 8083AC26
	v_mfma_f32_16x16x128_f8f6f4 v[148:151], a[40:47], v[136:143], 0// 000000007640: D3AD0094 0A031128
	ds_write_b64 v4, v[176:177] offset:29184                   // 000000007648: D89A7200 0000B004
	ds_write_b64 v4, v[178:179] offset:31360                   // 000000007650: D89A7A80 0000B204
	ds_write_b64 v4, v[180:181] offset:33536                   // 000000007658: D89A8300 0000B404
	ds_write_b64 v4, v[182:183] offset:35712                   // 000000007660: D89A8B80 0000B604
	s_waitcnt vmcnt(29)                                        // 000000007668: BF8C4F7D
	v_mfma_f32_16x16x128_f8f6f4 v[152:155], a[48:55], v[136:143], 0// 00000000766C: D3AD0098 0A031130
	buffer_load_dwordx4 a[176:179], v39, s[12:15], 0 offen     // 000000007674: E05C1000 8083B027
	buffer_load_dwordx4 a[180:183], v39, s[12:15], 0 offen offset:1024// 00000000767C: E05C1400 8083B427
	buffer_load_dwordx4 a[184:187], v40, s[12:15], 0 offen     // 000000007684: E05C1000 8083B828
	buffer_load_dwordx4 a[188:191], v40, s[12:15], 0 offen offset:1024// 00000000768C: E05C1400 8083BC28
	v_mfma_f32_16x16x128_f8f6f4 v[156:159], a[56:63], v[136:143], 0// 000000007694: D3AD009C 0A031138
	v_mul_f32_dpp v46, v19, v29 row_newbcast:2 row_mask:0xf bank_mask:0xf// 00000000769C: 0A5C3AFA FF015213
	v_mov_b32_e32 v47, v46                                     // 0000000076A4: 7E5E032E
	v_pk_fma_f32 v[160:161], v[144:145], v[46:47], v[160:161]  // 0000000076A8: D3B040A0 1E825D90
	v_pk_fma_f32 v[162:163], v[146:147], v[46:47], v[162:163]  // 0000000076B0: D3B040A2 1E8A5D92
	v_pk_fma_f32 v[164:165], v[148:149], v[46:47], v[164:165]  // 0000000076B8: D3B040A4 1E925D94
	v_pk_fma_f32 v[166:167], v[150:151], v[46:47], v[166:167]  // 0000000076C0: D3B040A6 1E9A5D96
	v_mul_f32_dpp v46, v19, v29 row_newbcast:3 row_mask:0xf bank_mask:0xf// 0000000076C8: 0A5C3AFA FF015313
	v_mov_b32_e32 v47, v46                                     // 0000000076D0: 7E5E032E
	v_pk_fma_f32 v[168:169], v[152:153], v[46:47], v[168:169]  // 0000000076D4: D3B040A8 1EA25D98
	v_pk_fma_f32 v[170:171], v[154:155], v[46:47], v[170:171]  // 0000000076DC: D3B040AA 1EAA5D9A
	v_pk_fma_f32 v[172:173], v[156:157], v[46:47], v[172:173]  // 0000000076E4: D3B040AC 1EB25D9C
	v_pk_fma_f32 v[174:175], v[158:159], v[46:47], v[174:175]  // 0000000076EC: D3B040AE 1EBA5D9E
	s_add_u32 s60, 0x300, s80                                  // 0000000076F4: 803C50FF 00000300
	s_cmp_lt_u32 s60, s81                                      // 0000000076FC: BF0A513C
	s_cselect_b32 s56, s56, 0                                  // 000000007700: 85388038
	s_cselect_b32 s78, s78, 0                                  // 000000007704: 854E804E
	s_cselect_b32 s79, s79, 0                                  // 000000007708: 854F804F
	s_add_u32 s12, s56, s12                                    // 00000000770C: 800C0C38
	s_addc_u32 s13, 0, s13                                     // 000000007710: 820D0D80
	s_add_u32 s16, s79, s16                                    // 000000007714: 8010104F
	s_addc_u32 s17, 0, s17                                     // 000000007718: 82111180
	v_mov_b32_e32 v46, v23                                     // 00000000771C: 7E5C0317
	v_mov_b32_e32 v47, v23                                     // 000000007720: 7E5E0317
	v_pk_mul_f32 v[160:161], v[46:47], v[160:161]              // 000000007724: D3B140A0 1803412E
	v_pk_mul_f32 v[162:163], v[46:47], v[162:163]              // 00000000772C: D3B140A2 1803452E
	v_pk_mul_f32 v[164:165], v[46:47], v[164:165]              // 000000007734: D3B140A4 1803492E
	v_pk_mul_f32 v[166:167], v[46:47], v[166:167]              // 00000000773C: D3B140A6 18034D2E
	v_pk_mul_f32 v[168:169], v[46:47], v[168:169]              // 000000007744: D3B140A8 1803512E
	v_pk_mul_f32 v[170:171], v[46:47], v[170:171]              // 00000000774C: D3B140AA 1803552E
	v_pk_mul_f32 v[172:173], v[46:47], v[172:173]              // 000000007754: D3B140AC 1803592E
	v_pk_mul_f32 v[174:175], v[46:47], v[174:175]              // 00000000775C: D3B140AE 18035D2E
	v_cvt_pk_bf16_f32 v160, v160, v161                         // 000000007764: D26800A0 000343A0
	v_cvt_pk_bf16_f32 v161, v162, v163                         // 00000000776C: D26800A1 000347A2
	v_cvt_pk_bf16_f32 v162, v164, v165                         // 000000007774: D26800A2 00034BA4
	v_cvt_pk_bf16_f32 v163, v166, v167                         // 00000000777C: D26800A3 00034FA6
	v_cvt_pk_bf16_f32 v164, v168, v169                         // 000000007784: D26800A4 000353A8
	v_cvt_pk_bf16_f32 v165, v170, v171                         // 00000000778C: D26800A5 000357AA
	v_cvt_pk_bf16_f32 v166, v172, v173                         // 000000007794: D26800A6 00035BAC
	v_cvt_pk_bf16_f32 v167, v174, v175                         // 00000000779C: D26800A7 00035FAE
	s_cmp_ge_u32 s80, 0x200                                    // 0000000077A4: BF09FF50 00000200
	s_cselect_b32 s59, 0x200, s59                              // 0000000077AC: 853B3BFF 00000200
	s_waitcnt lgkmcnt(0)                                       // 0000000077B4: BF8CC07F
	s_barrier                                                  // 0000000077B8: BF8A0000
	s_setvskip s20, 0                                          // 0000000077BC: BF108014
	global_atomic_pk_add_bf16 v80, v64, s[8:9]                 // 0000000077C0: DD488000 00084050
	s_setvskip 0, 0                                            // 0000000077C8: BF108080
	s_setvskip s20, 0                                          // 0000000077CC: BF108014
	global_atomic_pk_add_bf16 v80, v65, s[8:9] offset:256      // 0000000077D0: DD488100 00084150
	s_setvskip 0, 0                                            // 0000000077D8: BF108080
	s_setvskip s20, 1                                          // 0000000077DC: BF108114
	global_atomic_pk_add_bf16 v82, v66, s[8:9]                 // 0000000077E0: DD488000 00084252
	s_setvskip 0, 0                                            // 0000000077E8: BF108080
	s_setvskip s20, 1                                          // 0000000077EC: BF108114
	global_atomic_pk_add_bf16 v82, v67, s[8:9] offset:256      // 0000000077F0: DD488100 00084352
	s_setvskip 0, 0                                            // 0000000077F8: BF108080
	s_setvskip s20, 2                                          // 0000000077FC: BF108214
	global_atomic_pk_add_bf16 v84, v68, s[8:9]                 // 000000007800: DD488000 00084454
	s_setvskip 0, 0                                            // 000000007808: BF108080
	s_setvskip s20, 2                                          // 00000000780C: BF108214
	global_atomic_pk_add_bf16 v84, v69, s[8:9] offset:256      // 000000007810: DD488100 00084554
	s_setvskip 0, 0                                            // 000000007818: BF108080
	s_setvskip s20, 3                                          // 00000000781C: BF108314
	global_atomic_pk_add_bf16 v86, v70, s[8:9]                 // 000000007820: DD488000 00084656
	s_setvskip 0, 0                                            // 000000007828: BF108080
	s_setvskip s20, 3                                          // 00000000782C: BF108314
	global_atomic_pk_add_bf16 v86, v71, s[8:9] offset:256      // 000000007830: DD488100 00084756
	s_setvskip 0, 0                                            // 000000007838: BF108080
	s_add_u32 s8, s59, s8                                      // 00000000783C: 8008083B
	s_addc_u32 s9, 0, s9                                       // 000000007840: 82090980
	s_addk_i32 s80, 0x100                                      // 000000007844: B7500100
	s_cmp_lt_i32 s80, s81                                      // 000000007848: BF045150
	s_cbranch_scc0 label_0CF5                                  // 00000000784C: BF84FA61
	s_waitcnt vmcnt(29) lgkmcnt(0)                             // 000000007850: BF8C407D
	s_barrier                                                  // 000000007854: BF8A0000
	v_mfma_f32_16x16x128_f8f6f4 v[176:179], a[64:71], v[128:135], 0// 000000007858: D3AD00B0 0A030140
	buffer_load_dword v19, v6, s[16:19], 0 offen               // 000000007860: E0501000 80041306
	buffer_load_dwordx4 a[0:3], v37, s[12:15], 0 offen         // 000000007868: E05C1000 80830025
	buffer_load_dwordx4 a[4:7], v37, s[12:15], 0 offen offset:1024// 000000007870: E05C1400 80830425
	buffer_load_dwordx4 a[8:11], v38, s[12:15], 0 offen        // 000000007878: E05C1000 80830826
	buffer_load_dwordx4 a[12:15], v38, s[12:15], 0 offen offset:1024// 000000007880: E05C1400 80830C26
	v_mfma_f32_16x16x128_f8f6f4 v[180:183], a[72:79], v[128:135], 0// 000000007888: D3AD00B4 0A030148
	ds_read_b32 v64, v5 offset:29184                           // 000000007890: D86C7200 40000005
	ds_read_b32 v65, v5 offset:33536                           // 000000007898: D86C8300 41000005
	ds_read_b32 v66, v5 offset:29192                           // 0000000078A0: D86C7208 42000005
	ds_read_b32 v67, v5 offset:33544                           // 0000000078A8: D86C8308 43000005
	ds_read_b32 v68, v5 offset:29216                           // 0000000078B0: D86C7220 44000005
	ds_read_b32 v69, v5 offset:33568                           // 0000000078B8: D86C8320 45000005
	ds_read_b32 v70, v5 offset:29224                           // 0000000078C0: D86C7228 46000005
	ds_read_b32 v71, v5 offset:33576                           // 0000000078C8: D86C8328 47000005
	s_waitcnt vmcnt(29)                                        // 0000000078D0: BF8C4F7D
	v_mfma_f32_16x16x128_f8f6f4 v[184:187], a[80:87], v[128:135], 0// 0000000078D4: D3AD00B8 0A030150
	buffer_load_dwordx4 a[16:19], v39, s[12:15], 0 offen       // 0000000078DC: E05C1000 80831027
	buffer_load_dwordx4 a[20:23], v39, s[12:15], 0 offen offset:1024// 0000000078E4: E05C1400 80831427
	buffer_load_dwordx4 a[24:27], v40, s[12:15], 0 offen       // 0000000078EC: E05C1000 80831828
	buffer_load_dwordx4 a[28:31], v40, s[12:15], 0 offen offset:1024// 0000000078F4: E05C1400 80831C28
	s_add_u32 s12, s78, s12                                    // 0000000078FC: 800C0C4E
	s_addc_u32 s13, 0, s13                                     // 000000007900: 820D0D80
	v_mfma_f32_16x16x128_f8f6f4 v[188:191], a[88:95], v[128:135], 0// 000000007904: D3AD00BC 0A030158
	v_mul_f32_dpp v46, v20, v28 row_newbcast:0 row_mask:0xf bank_mask:0xf// 00000000790C: 0A5C38FA FF015014
	v_mov_b32_e32 v47, v46                                     // 000000007914: 7E5E032E
	v_pk_mul_f32 v[176:177], v[46:47], v[176:177]              // 000000007918: D3B140B0 1803612E
	v_pk_mul_f32 v[178:179], v[46:47], v[178:179]              // 000000007920: D3B140B2 1803652E
	v_pk_mul_f32 v[180:181], v[46:47], v[180:181]              // 000000007928: D3B140B4 1803692E
	v_pk_mul_f32 v[182:183], v[46:47], v[182:183]              // 000000007930: D3B140B6 18036D2E
	v_mul_f32_dpp v46, v20, v28 row_newbcast:1 row_mask:0xf bank_mask:0xf// 000000007938: 0A5C38FA FF015114
	v_mov_b32_e32 v47, v46                                     // 000000007940: 7E5E032E
	v_pk_mul_f32 v[184:185], v[46:47], v[184:185]              // 000000007944: D3B140B8 1803712E
	v_pk_mul_f32 v[186:187], v[46:47], v[186:187]              // 00000000794C: D3B140BA 1803752E
	v_pk_mul_f32 v[188:189], v[46:47], v[188:189]              // 000000007954: D3B140BC 1803792E
	v_pk_mul_f32 v[190:191], v[46:47], v[190:191]              // 00000000795C: D3B140BE 18037D2E
	s_waitcnt vmcnt(29)                                        // 000000007964: BF8C4F7D
	v_mfma_f32_16x16x128_f8f6f4 v[144:147], a[96:103], v[136:143], 0// 000000007968: D3AD0090 0A031160
	buffer_load_dwordx4 a[32:35], v37, s[12:15], 0 offen       // 000000007970: E05C1000 80832025
	buffer_load_dwordx4 a[36:39], v37, s[12:15], 0 offen offset:1024// 000000007978: E05C1400 80832425
	buffer_load_dwordx4 a[40:43], v38, s[12:15], 0 offen       // 000000007980: E05C1000 80832826
	buffer_load_dwordx4 a[44:47], v38, s[12:15], 0 offen offset:1024// 000000007988: E05C1400 80832C26
	v_mfma_f32_16x16x128_f8f6f4 v[148:151], a[104:111], v[136:143], 0// 000000007990: D3AD0094 0A031168
	ds_write_b64 v4, v[160:161] offset:11776                   // 000000007998: D89A2E00 0000A004
	ds_write_b64 v4, v[162:163] offset:13952                   // 0000000079A0: D89A3680 0000A204
	ds_write_b64 v4, v[164:165] offset:16128                   // 0000000079A8: D89A3F00 0000A404
	ds_write_b64 v4, v[166:167] offset:18304                   // 0000000079B0: D89A4780 0000A604
	s_waitcnt vmcnt(29)                                        // 0000000079B8: BF8C4F7D
	v_mfma_f32_16x16x128_f8f6f4 v[152:155], a[112:119], v[136:143], 0// 0000000079BC: D3AD0098 0A031170
	buffer_load_dwordx4 a[48:51], v39, s[12:15], 0 offen       // 0000000079C4: E05C1000 80833027
	buffer_load_dwordx4 a[52:55], v39, s[12:15], 0 offen offset:1024// 0000000079CC: E05C1400 80833427
	buffer_load_dwordx4 a[56:59], v40, s[12:15], 0 offen       // 0000000079D4: E05C1000 80833828
	buffer_load_dwordx4 a[60:63], v40, s[12:15], 0 offen offset:1024// 0000000079DC: E05C1400 80833C28
	v_mfma_f32_16x16x128_f8f6f4 v[156:159], a[120:127], v[136:143], 0// 0000000079E4: D3AD009C 0A031178
	v_mul_f32_dpp v46, v20, v29 row_newbcast:2 row_mask:0xf bank_mask:0xf// 0000000079EC: 0A5C3AFA FF015214
	v_mov_b32_e32 v47, v46                                     // 0000000079F4: 7E5E032E
	v_pk_fma_f32 v[176:177], v[144:145], v[46:47], v[176:177]  // 0000000079F8: D3B040B0 1EC25D90
	v_pk_fma_f32 v[178:179], v[146:147], v[46:47], v[178:179]  // 000000007A00: D3B040B2 1ECA5D92
	v_pk_fma_f32 v[180:181], v[148:149], v[46:47], v[180:181]  // 000000007A08: D3B040B4 1ED25D94
	v_pk_fma_f32 v[182:183], v[150:151], v[46:47], v[182:183]  // 000000007A10: D3B040B6 1EDA5D96
	v_mul_f32_dpp v46, v20, v29 row_newbcast:3 row_mask:0xf bank_mask:0xf// 000000007A18: 0A5C3AFA FF015314
	v_mov_b32_e32 v47, v46                                     // 000000007A20: 7E5E032E
	v_pk_fma_f32 v[184:185], v[152:153], v[46:47], v[184:185]  // 000000007A24: D3B040B8 1EE25D98
	v_pk_fma_f32 v[186:187], v[154:155], v[46:47], v[186:187]  // 000000007A2C: D3B040BA 1EEA5D9A
	v_pk_fma_f32 v[188:189], v[156:157], v[46:47], v[188:189]  // 000000007A34: D3B040BC 1EF25D9C
	v_pk_fma_f32 v[190:191], v[158:159], v[46:47], v[190:191]  // 000000007A3C: D3B040BE 1EFA5D9E
	s_add_u32 s60, 0x300, s80                                  // 000000007A44: 803C50FF 00000300
	s_cmp_lt_u32 s60, s81                                      // 000000007A4C: BF0A513C
	s_cselect_b32 s56, s56, 0                                  // 000000007A50: 85388038
	s_cselect_b32 s78, s78, 0                                  // 000000007A54: 854E804E
	s_cselect_b32 s79, s79, 0                                  // 000000007A58: 854F804F
	s_add_u32 s12, s56, s12                                    // 000000007A5C: 800C0C38
	s_addc_u32 s13, 0, s13                                     // 000000007A60: 820D0D80
	s_add_u32 s16, s79, s16                                    // 000000007A64: 8010104F
	s_addc_u32 s17, 0, s17                                     // 000000007A68: 82111180
	v_mov_b32_e32 v46, v23                                     // 000000007A6C: 7E5C0317
	v_mov_b32_e32 v47, v23                                     // 000000007A70: 7E5E0317
	v_pk_mul_f32 v[176:177], v[46:47], v[176:177]              // 000000007A74: D3B140B0 1803612E
	v_pk_mul_f32 v[178:179], v[46:47], v[178:179]              // 000000007A7C: D3B140B2 1803652E
	v_pk_mul_f32 v[180:181], v[46:47], v[180:181]              // 000000007A84: D3B140B4 1803692E
	v_pk_mul_f32 v[182:183], v[46:47], v[182:183]              // 000000007A8C: D3B140B6 18036D2E
	v_pk_mul_f32 v[184:185], v[46:47], v[184:185]              // 000000007A94: D3B140B8 1803712E
	v_pk_mul_f32 v[186:187], v[46:47], v[186:187]              // 000000007A9C: D3B140BA 1803752E
	v_pk_mul_f32 v[188:189], v[46:47], v[188:189]              // 000000007AA4: D3B140BC 1803792E
	v_pk_mul_f32 v[190:191], v[46:47], v[190:191]              // 000000007AAC: D3B140BE 18037D2E
	v_cvt_pk_bf16_f32 v176, v176, v177                         // 000000007AB4: D26800B0 000363B0
	v_cvt_pk_bf16_f32 v177, v178, v179                         // 000000007ABC: D26800B1 000367B2
	v_cvt_pk_bf16_f32 v178, v180, v181                         // 000000007AC4: D26800B2 00036BB4
	v_cvt_pk_bf16_f32 v179, v182, v183                         // 000000007ACC: D26800B3 00036FB6
	v_cvt_pk_bf16_f32 v180, v184, v185                         // 000000007AD4: D26800B4 000373B8
	v_cvt_pk_bf16_f32 v181, v186, v187                         // 000000007ADC: D26800B5 000377BA
	v_cvt_pk_bf16_f32 v182, v188, v189                         // 000000007AE4: D26800B6 00037BBC
	v_cvt_pk_bf16_f32 v183, v190, v191                         // 000000007AEC: D26800B7 00037FBE
	s_cmp_ge_u32 s80, 0x200                                    // 000000007AF4: BF09FF50 00000200
	s_cselect_b32 s59, 0x200, s59                              // 000000007AFC: 853B3BFF 00000200
	s_waitcnt lgkmcnt(0)                                       // 000000007B04: BF8CC07F
	s_barrier                                                  // 000000007B08: BF8A0000
	s_setvskip s20, 0                                          // 000000007B0C: BF108014
	global_atomic_pk_add_bf16 v80, v64, s[8:9]                 // 000000007B10: DD488000 00084050
	s_setvskip 0, 0                                            // 000000007B18: BF108080
	s_setvskip s20, 0                                          // 000000007B1C: BF108014
	global_atomic_pk_add_bf16 v80, v65, s[8:9] offset:256      // 000000007B20: DD488100 00084150
	s_setvskip 0, 0                                            // 000000007B28: BF108080
	s_setvskip s20, 1                                          // 000000007B2C: BF108114
	global_atomic_pk_add_bf16 v82, v66, s[8:9]                 // 000000007B30: DD488000 00084252
	s_setvskip 0, 0                                            // 000000007B38: BF108080
	s_setvskip s20, 1                                          // 000000007B3C: BF108114
	global_atomic_pk_add_bf16 v82, v67, s[8:9] offset:256      // 000000007B40: DD488100 00084352
	s_setvskip 0, 0                                            // 000000007B48: BF108080
	s_setvskip s20, 2                                          // 000000007B4C: BF108214
	global_atomic_pk_add_bf16 v84, v68, s[8:9]                 // 000000007B50: DD488000 00084454
	s_setvskip 0, 0                                            // 000000007B58: BF108080
	s_setvskip s20, 2                                          // 000000007B5C: BF108214
	global_atomic_pk_add_bf16 v84, v69, s[8:9] offset:256      // 000000007B60: DD488100 00084554
	s_setvskip 0, 0                                            // 000000007B68: BF108080
	s_setvskip s20, 3                                          // 000000007B6C: BF108314
	global_atomic_pk_add_bf16 v86, v70, s[8:9]                 // 000000007B70: DD488000 00084656
	s_setvskip 0, 0                                            // 000000007B78: BF108080
	s_setvskip s20, 3                                          // 000000007B7C: BF108314
	global_atomic_pk_add_bf16 v86, v71, s[8:9] offset:256      // 000000007B80: DD488100 00084756
	s_setvskip 0, 0                                            // 000000007B88: BF108080
	s_add_u32 s8, s59, s8                                      // 000000007B8C: 8008083B
	s_addc_u32 s9, 0, s9                                       // 000000007B90: 82090980
	s_addk_i32 s80, 0x100                                      // 000000007B94: B7500100
	s_cmp_lt_i32 s80, s81                                      // 000000007B98: BF045150
	s_cbranch_scc0 label_0CF5                                  // 000000007B9C: BF84F98D
	s_waitcnt vmcnt(29) lgkmcnt(0)                             // 000000007BA0: BF8C407D
	s_barrier                                                  // 000000007BA4: BF8A0000
	v_mfma_f32_16x16x128_f8f6f4 v[160:163], a[128:135], v[128:135], 0// 000000007BA8: D3AD00A0 0A030180
	buffer_load_dword v20, v6, s[16:19], 0 offen               // 000000007BB0: E0501000 80041406
	buffer_load_dwordx4 a[64:67], v37, s[12:15], 0 offen       // 000000007BB8: E05C1000 80834025
	buffer_load_dwordx4 a[68:71], v37, s[12:15], 0 offen offset:1024// 000000007BC0: E05C1400 80834425
	buffer_load_dwordx4 a[72:75], v38, s[12:15], 0 offen       // 000000007BC8: E05C1000 80834826
	buffer_load_dwordx4 a[76:79], v38, s[12:15], 0 offen offset:1024// 000000007BD0: E05C1400 80834C26
	v_mfma_f32_16x16x128_f8f6f4 v[164:167], a[136:143], v[128:135], 0// 000000007BD8: D3AD00A4 0A030188
	ds_read_b32 v64, v5 offset:11776                           // 000000007BE0: D86C2E00 40000005
	ds_read_b32 v65, v5 offset:16128                           // 000000007BE8: D86C3F00 41000005
	ds_read_b32 v66, v5 offset:11784                           // 000000007BF0: D86C2E08 42000005
	ds_read_b32 v67, v5 offset:16136                           // 000000007BF8: D86C3F08 43000005
	ds_read_b32 v68, v5 offset:11808                           // 000000007C00: D86C2E20 44000005
	ds_read_b32 v69, v5 offset:16160                           // 000000007C08: D86C3F20 45000005
	ds_read_b32 v70, v5 offset:11816                           // 000000007C10: D86C2E28 46000005
	ds_read_b32 v71, v5 offset:16168                           // 000000007C18: D86C3F28 47000005
	s_waitcnt vmcnt(29)                                        // 000000007C20: BF8C4F7D
	v_mfma_f32_16x16x128_f8f6f4 v[168:171], a[144:151], v[128:135], 0// 000000007C24: D3AD00A8 0A030190
	buffer_load_dwordx4 a[80:83], v39, s[12:15], 0 offen       // 000000007C2C: E05C1000 80835027
	buffer_load_dwordx4 a[84:87], v39, s[12:15], 0 offen offset:1024// 000000007C34: E05C1400 80835427
	buffer_load_dwordx4 a[88:91], v40, s[12:15], 0 offen       // 000000007C3C: E05C1000 80835828
	buffer_load_dwordx4 a[92:95], v40, s[12:15], 0 offen offset:1024// 000000007C44: E05C1400 80835C28
	s_add_u32 s12, s78, s12                                    // 000000007C4C: 800C0C4E
	s_addc_u32 s13, 0, s13                                     // 000000007C50: 820D0D80
	v_mfma_f32_16x16x128_f8f6f4 v[172:175], a[152:159], v[128:135], 0// 000000007C54: D3AD00AC 0A030198
	v_mul_f32_dpp v46, v21, v28 row_newbcast:0 row_mask:0xf bank_mask:0xf// 000000007C5C: 0A5C38FA FF015015
	v_mov_b32_e32 v47, v46                                     // 000000007C64: 7E5E032E
	v_pk_mul_f32 v[160:161], v[46:47], v[160:161]              // 000000007C68: D3B140A0 1803412E
	v_pk_mul_f32 v[162:163], v[46:47], v[162:163]              // 000000007C70: D3B140A2 1803452E
	v_pk_mul_f32 v[164:165], v[46:47], v[164:165]              // 000000007C78: D3B140A4 1803492E
	v_pk_mul_f32 v[166:167], v[46:47], v[166:167]              // 000000007C80: D3B140A6 18034D2E
	v_mul_f32_dpp v46, v21, v28 row_newbcast:1 row_mask:0xf bank_mask:0xf// 000000007C88: 0A5C38FA FF015115
	v_mov_b32_e32 v47, v46                                     // 000000007C90: 7E5E032E
	v_pk_mul_f32 v[168:169], v[46:47], v[168:169]              // 000000007C94: D3B140A8 1803512E
	v_pk_mul_f32 v[170:171], v[46:47], v[170:171]              // 000000007C9C: D3B140AA 1803552E
	v_pk_mul_f32 v[172:173], v[46:47], v[172:173]              // 000000007CA4: D3B140AC 1803592E
	v_pk_mul_f32 v[174:175], v[46:47], v[174:175]              // 000000007CAC: D3B140AE 18035D2E
	s_waitcnt vmcnt(29)                                        // 000000007CB4: BF8C4F7D
	v_mfma_f32_16x16x128_f8f6f4 v[144:147], a[160:167], v[136:143], 0// 000000007CB8: D3AD0090 0A0311A0
	buffer_load_dwordx4 a[96:99], v37, s[12:15], 0 offen       // 000000007CC0: E05C1000 80836025
	buffer_load_dwordx4 a[100:103], v37, s[12:15], 0 offen offset:1024// 000000007CC8: E05C1400 80836425
	buffer_load_dwordx4 a[104:107], v38, s[12:15], 0 offen     // 000000007CD0: E05C1000 80836826
	buffer_load_dwordx4 a[108:111], v38, s[12:15], 0 offen offset:1024// 000000007CD8: E05C1400 80836C26
	v_mfma_f32_16x16x128_f8f6f4 v[148:151], a[168:175], v[136:143], 0// 000000007CE0: D3AD0094 0A0311A8
	ds_write_b64 v4, v[176:177] offset:29184                   // 000000007CE8: D89A7200 0000B004
	ds_write_b64 v4, v[178:179] offset:31360                   // 000000007CF0: D89A7A80 0000B204
	ds_write_b64 v4, v[180:181] offset:33536                   // 000000007CF8: D89A8300 0000B404
	ds_write_b64 v4, v[182:183] offset:35712                   // 000000007D00: D89A8B80 0000B604
	s_waitcnt vmcnt(29)                                        // 000000007D08: BF8C4F7D
	v_mfma_f32_16x16x128_f8f6f4 v[152:155], a[176:183], v[136:143], 0// 000000007D0C: D3AD0098 0A0311B0
	buffer_load_dwordx4 a[112:115], v39, s[12:15], 0 offen     // 000000007D14: E05C1000 80837027
	buffer_load_dwordx4 a[116:119], v39, s[12:15], 0 offen offset:1024// 000000007D1C: E05C1400 80837427
	buffer_load_dwordx4 a[120:123], v40, s[12:15], 0 offen     // 000000007D24: E05C1000 80837828
	buffer_load_dwordx4 a[124:127], v40, s[12:15], 0 offen offset:1024// 000000007D2C: E05C1400 80837C28
	v_mfma_f32_16x16x128_f8f6f4 v[156:159], a[184:191], v[136:143], 0// 000000007D34: D3AD009C 0A0311B8
	v_mul_f32_dpp v46, v21, v29 row_newbcast:2 row_mask:0xf bank_mask:0xf// 000000007D3C: 0A5C3AFA FF015215
	v_mov_b32_e32 v47, v46                                     // 000000007D44: 7E5E032E
	v_pk_fma_f32 v[160:161], v[144:145], v[46:47], v[160:161]  // 000000007D48: D3B040A0 1E825D90
	v_pk_fma_f32 v[162:163], v[146:147], v[46:47], v[162:163]  // 000000007D50: D3B040A2 1E8A5D92
	v_pk_fma_f32 v[164:165], v[148:149], v[46:47], v[164:165]  // 000000007D58: D3B040A4 1E925D94
	v_pk_fma_f32 v[166:167], v[150:151], v[46:47], v[166:167]  // 000000007D60: D3B040A6 1E9A5D96
	v_mul_f32_dpp v46, v21, v29 row_newbcast:3 row_mask:0xf bank_mask:0xf// 000000007D68: 0A5C3AFA FF015315
	v_mov_b32_e32 v47, v46                                     // 000000007D70: 7E5E032E
	v_pk_fma_f32 v[168:169], v[152:153], v[46:47], v[168:169]  // 000000007D74: D3B040A8 1EA25D98
	v_pk_fma_f32 v[170:171], v[154:155], v[46:47], v[170:171]  // 000000007D7C: D3B040AA 1EAA5D9A
	v_pk_fma_f32 v[172:173], v[156:157], v[46:47], v[172:173]  // 000000007D84: D3B040AC 1EB25D9C
	v_pk_fma_f32 v[174:175], v[158:159], v[46:47], v[174:175]  // 000000007D8C: D3B040AE 1EBA5D9E
	s_add_u32 s60, 0x300, s80                                  // 000000007D94: 803C50FF 00000300
	s_cmp_lt_u32 s60, s81                                      // 000000007D9C: BF0A513C
	s_cselect_b32 s56, s56, 0                                  // 000000007DA0: 85388038
	s_cselect_b32 s78, s78, 0                                  // 000000007DA4: 854E804E
	s_cselect_b32 s79, s79, 0                                  // 000000007DA8: 854F804F
	s_add_u32 s12, s56, s12                                    // 000000007DAC: 800C0C38
	s_addc_u32 s13, 0, s13                                     // 000000007DB0: 820D0D80
	s_add_u32 s16, s79, s16                                    // 000000007DB4: 8010104F
	s_addc_u32 s17, 0, s17                                     // 000000007DB8: 82111180
	v_mov_b32_e32 v46, v23                                     // 000000007DBC: 7E5C0317
	v_mov_b32_e32 v47, v23                                     // 000000007DC0: 7E5E0317
	v_pk_mul_f32 v[160:161], v[46:47], v[160:161]              // 000000007DC4: D3B140A0 1803412E
	v_pk_mul_f32 v[162:163], v[46:47], v[162:163]              // 000000007DCC: D3B140A2 1803452E
	v_pk_mul_f32 v[164:165], v[46:47], v[164:165]              // 000000007DD4: D3B140A4 1803492E
	v_pk_mul_f32 v[166:167], v[46:47], v[166:167]              // 000000007DDC: D3B140A6 18034D2E
	v_pk_mul_f32 v[168:169], v[46:47], v[168:169]              // 000000007DE4: D3B140A8 1803512E
	v_pk_mul_f32 v[170:171], v[46:47], v[170:171]              // 000000007DEC: D3B140AA 1803552E
	v_pk_mul_f32 v[172:173], v[46:47], v[172:173]              // 000000007DF4: D3B140AC 1803592E
	v_pk_mul_f32 v[174:175], v[46:47], v[174:175]              // 000000007DFC: D3B140AE 18035D2E
	v_cvt_pk_bf16_f32 v160, v160, v161                         // 000000007E04: D26800A0 000343A0
	v_cvt_pk_bf16_f32 v161, v162, v163                         // 000000007E0C: D26800A1 000347A2
	v_cvt_pk_bf16_f32 v162, v164, v165                         // 000000007E14: D26800A2 00034BA4
	v_cvt_pk_bf16_f32 v163, v166, v167                         // 000000007E1C: D26800A3 00034FA6
	v_cvt_pk_bf16_f32 v164, v168, v169                         // 000000007E24: D26800A4 000353A8
	v_cvt_pk_bf16_f32 v165, v170, v171                         // 000000007E2C: D26800A5 000357AA
	v_cvt_pk_bf16_f32 v166, v172, v173                         // 000000007E34: D26800A6 00035BAC
	v_cvt_pk_bf16_f32 v167, v174, v175                         // 000000007E3C: D26800A7 00035FAE
	s_cmp_ge_u32 s80, 0x200                                    // 000000007E44: BF09FF50 00000200
	s_cselect_b32 s59, 0x200, s59                              // 000000007E4C: 853B3BFF 00000200
	s_waitcnt lgkmcnt(0)                                       // 000000007E54: BF8CC07F
	s_barrier                                                  // 000000007E58: BF8A0000
	s_setvskip s20, 0                                          // 000000007E5C: BF108014
	global_atomic_pk_add_bf16 v80, v64, s[8:9]                 // 000000007E60: DD488000 00084050
	s_setvskip 0, 0                                            // 000000007E68: BF108080
	s_setvskip s20, 0                                          // 000000007E6C: BF108014
	global_atomic_pk_add_bf16 v80, v65, s[8:9] offset:256      // 000000007E70: DD488100 00084150
	s_setvskip 0, 0                                            // 000000007E78: BF108080
	s_setvskip s20, 1                                          // 000000007E7C: BF108114
	global_atomic_pk_add_bf16 v82, v66, s[8:9]                 // 000000007E80: DD488000 00084252
	s_setvskip 0, 0                                            // 000000007E88: BF108080
	s_setvskip s20, 1                                          // 000000007E8C: BF108114
	global_atomic_pk_add_bf16 v82, v67, s[8:9] offset:256      // 000000007E90: DD488100 00084352
	s_setvskip 0, 0                                            // 000000007E98: BF108080
	s_setvskip s20, 2                                          // 000000007E9C: BF108214
	global_atomic_pk_add_bf16 v84, v68, s[8:9]                 // 000000007EA0: DD488000 00084454
	s_setvskip 0, 0                                            // 000000007EA8: BF108080
	s_setvskip s20, 2                                          // 000000007EAC: BF108214
	global_atomic_pk_add_bf16 v84, v69, s[8:9] offset:256      // 000000007EB0: DD488100 00084554
	s_setvskip 0, 0                                            // 000000007EB8: BF108080
	s_setvskip s20, 3                                          // 000000007EBC: BF108314
	global_atomic_pk_add_bf16 v86, v70, s[8:9]                 // 000000007EC0: DD488000 00084656
	s_setvskip 0, 0                                            // 000000007EC8: BF108080
	s_setvskip s20, 3                                          // 000000007ECC: BF108314
	global_atomic_pk_add_bf16 v86, v71, s[8:9] offset:256      // 000000007ED0: DD488100 00084756
	s_setvskip 0, 0                                            // 000000007ED8: BF108080
	s_add_u32 s8, s59, s8                                      // 000000007EDC: 8008083B
	s_addc_u32 s9, 0, s9                                       // 000000007EE0: 82090980
	s_addk_i32 s80, 0x100                                      // 000000007EE4: B7500100
	s_cmp_lt_i32 s80, s81                                      // 000000007EE8: BF045150
	s_cbranch_scc0 label_0CF5                                  // 000000007EEC: BF84F8B9
	s_waitcnt vmcnt(29) lgkmcnt(0)                             // 000000007EF0: BF8C407D
	s_barrier                                                  // 000000007EF4: BF8A0000
	v_mfma_f32_16x16x128_f8f6f4 v[176:179], a[0:7], v[128:135], 0// 000000007EF8: D3AD00B0 0A030100
	buffer_load_dword v21, v6, s[16:19], 0 offen               // 000000007F00: E0501000 80041506
	buffer_load_dwordx4 a[128:131], v37, s[12:15], 0 offen     // 000000007F08: E05C1000 80838025
	buffer_load_dwordx4 a[132:135], v37, s[12:15], 0 offen offset:1024// 000000007F10: E05C1400 80838425
	buffer_load_dwordx4 a[136:139], v38, s[12:15], 0 offen     // 000000007F18: E05C1000 80838826
	buffer_load_dwordx4 a[140:143], v38, s[12:15], 0 offen offset:1024// 000000007F20: E05C1400 80838C26
	v_mfma_f32_16x16x128_f8f6f4 v[180:183], a[8:15], v[128:135], 0// 000000007F28: D3AD00B4 0A030108
	ds_read_b32 v64, v5 offset:29184                           // 000000007F30: D86C7200 40000005
	ds_read_b32 v65, v5 offset:33536                           // 000000007F38: D86C8300 41000005
	ds_read_b32 v66, v5 offset:29192                           // 000000007F40: D86C7208 42000005
	ds_read_b32 v67, v5 offset:33544                           // 000000007F48: D86C8308 43000005
	ds_read_b32 v68, v5 offset:29216                           // 000000007F50: D86C7220 44000005
	ds_read_b32 v69, v5 offset:33568                           // 000000007F58: D86C8320 45000005
	ds_read_b32 v70, v5 offset:29224                           // 000000007F60: D86C7228 46000005
	ds_read_b32 v71, v5 offset:33576                           // 000000007F68: D86C8328 47000005
	s_waitcnt vmcnt(29)                                        // 000000007F70: BF8C4F7D
	v_mfma_f32_16x16x128_f8f6f4 v[184:187], a[16:23], v[128:135], 0// 000000007F74: D3AD00B8 0A030110
	buffer_load_dwordx4 a[144:147], v39, s[12:15], 0 offen     // 000000007F7C: E05C1000 80839027
	buffer_load_dwordx4 a[148:151], v39, s[12:15], 0 offen offset:1024// 000000007F84: E05C1400 80839427
	buffer_load_dwordx4 a[152:155], v40, s[12:15], 0 offen     // 000000007F8C: E05C1000 80839828
	buffer_load_dwordx4 a[156:159], v40, s[12:15], 0 offen offset:1024// 000000007F94: E05C1400 80839C28
	s_add_u32 s12, s78, s12                                    // 000000007F9C: 800C0C4E
	s_addc_u32 s13, 0, s13                                     // 000000007FA0: 820D0D80
	v_mfma_f32_16x16x128_f8f6f4 v[188:191], a[24:31], v[128:135], 0// 000000007FA4: D3AD00BC 0A030118
	v_mul_f32_dpp v46, v19, v28 row_newbcast:0 row_mask:0xf bank_mask:0xf// 000000007FAC: 0A5C38FA FF015013
	v_mov_b32_e32 v47, v46                                     // 000000007FB4: 7E5E032E
	v_pk_mul_f32 v[176:177], v[46:47], v[176:177]              // 000000007FB8: D3B140B0 1803612E
	v_pk_mul_f32 v[178:179], v[46:47], v[178:179]              // 000000007FC0: D3B140B2 1803652E
	v_pk_mul_f32 v[180:181], v[46:47], v[180:181]              // 000000007FC8: D3B140B4 1803692E
	v_pk_mul_f32 v[182:183], v[46:47], v[182:183]              // 000000007FD0: D3B140B6 18036D2E
	v_mul_f32_dpp v46, v19, v28 row_newbcast:1 row_mask:0xf bank_mask:0xf// 000000007FD8: 0A5C38FA FF015113
	v_mov_b32_e32 v47, v46                                     // 000000007FE0: 7E5E032E
	v_pk_mul_f32 v[184:185], v[46:47], v[184:185]              // 000000007FE4: D3B140B8 1803712E
	v_pk_mul_f32 v[186:187], v[46:47], v[186:187]              // 000000007FEC: D3B140BA 1803752E
	v_pk_mul_f32 v[188:189], v[46:47], v[188:189]              // 000000007FF4: D3B140BC 1803792E
	v_pk_mul_f32 v[190:191], v[46:47], v[190:191]              // 000000007FFC: D3B140BE 18037D2E
	s_waitcnt vmcnt(29)                                        // 000000008004: BF8C4F7D
	v_mfma_f32_16x16x128_f8f6f4 v[144:147], a[32:39], v[136:143], 0// 000000008008: D3AD0090 0A031120
	buffer_load_dwordx4 a[160:163], v37, s[12:15], 0 offen     // 000000008010: E05C1000 8083A025
	buffer_load_dwordx4 a[164:167], v37, s[12:15], 0 offen offset:1024// 000000008018: E05C1400 8083A425
	buffer_load_dwordx4 a[168:171], v38, s[12:15], 0 offen     // 000000008020: E05C1000 8083A826
	buffer_load_dwordx4 a[172:175], v38, s[12:15], 0 offen offset:1024// 000000008028: E05C1400 8083AC26
	v_mfma_f32_16x16x128_f8f6f4 v[148:151], a[40:47], v[136:143], 0// 000000008030: D3AD0094 0A031128
	ds_write_b64 v4, v[160:161] offset:11776                   // 000000008038: D89A2E00 0000A004
	ds_write_b64 v4, v[162:163] offset:13952                   // 000000008040: D89A3680 0000A204
	ds_write_b64 v4, v[164:165] offset:16128                   // 000000008048: D89A3F00 0000A404
	ds_write_b64 v4, v[166:167] offset:18304                   // 000000008050: D89A4780 0000A604
	s_waitcnt vmcnt(29)                                        // 000000008058: BF8C4F7D
	v_mfma_f32_16x16x128_f8f6f4 v[152:155], a[48:55], v[136:143], 0// 00000000805C: D3AD0098 0A031130
	buffer_load_dwordx4 a[176:179], v39, s[12:15], 0 offen     // 000000008064: E05C1000 8083B027
	buffer_load_dwordx4 a[180:183], v39, s[12:15], 0 offen offset:1024// 00000000806C: E05C1400 8083B427
	buffer_load_dwordx4 a[184:187], v40, s[12:15], 0 offen     // 000000008074: E05C1000 8083B828
	buffer_load_dwordx4 a[188:191], v40, s[12:15], 0 offen offset:1024// 00000000807C: E05C1400 8083BC28
	v_mfma_f32_16x16x128_f8f6f4 v[156:159], a[56:63], v[136:143], 0// 000000008084: D3AD009C 0A031138
	v_mul_f32_dpp v46, v19, v29 row_newbcast:2 row_mask:0xf bank_mask:0xf// 00000000808C: 0A5C3AFA FF015213
	v_mov_b32_e32 v47, v46                                     // 000000008094: 7E5E032E
	v_pk_fma_f32 v[176:177], v[144:145], v[46:47], v[176:177]  // 000000008098: D3B040B0 1EC25D90
	v_pk_fma_f32 v[178:179], v[146:147], v[46:47], v[178:179]  // 0000000080A0: D3B040B2 1ECA5D92
	v_pk_fma_f32 v[180:181], v[148:149], v[46:47], v[180:181]  // 0000000080A8: D3B040B4 1ED25D94
	v_pk_fma_f32 v[182:183], v[150:151], v[46:47], v[182:183]  // 0000000080B0: D3B040B6 1EDA5D96
	v_mul_f32_dpp v46, v19, v29 row_newbcast:3 row_mask:0xf bank_mask:0xf// 0000000080B8: 0A5C3AFA FF015313
	v_mov_b32_e32 v47, v46                                     // 0000000080C0: 7E5E032E
	v_pk_fma_f32 v[184:185], v[152:153], v[46:47], v[184:185]  // 0000000080C4: D3B040B8 1EE25D98
	v_pk_fma_f32 v[186:187], v[154:155], v[46:47], v[186:187]  // 0000000080CC: D3B040BA 1EEA5D9A
	v_pk_fma_f32 v[188:189], v[156:157], v[46:47], v[188:189]  // 0000000080D4: D3B040BC 1EF25D9C
	v_pk_fma_f32 v[190:191], v[158:159], v[46:47], v[190:191]  // 0000000080DC: D3B040BE 1EFA5D9E
	s_add_u32 s60, 0x300, s80                                  // 0000000080E4: 803C50FF 00000300
	s_cmp_lt_u32 s60, s81                                      // 0000000080EC: BF0A513C
	s_cselect_b32 s56, s56, 0                                  // 0000000080F0: 85388038
	s_cselect_b32 s78, s78, 0                                  // 0000000080F4: 854E804E
	s_cselect_b32 s79, s79, 0                                  // 0000000080F8: 854F804F
	s_add_u32 s12, s56, s12                                    // 0000000080FC: 800C0C38
	s_addc_u32 s13, 0, s13                                     // 000000008100: 820D0D80
	s_add_u32 s16, s79, s16                                    // 000000008104: 8010104F
	s_addc_u32 s17, 0, s17                                     // 000000008108: 82111180
	v_mov_b32_e32 v46, v23                                     // 00000000810C: 7E5C0317
	v_mov_b32_e32 v47, v23                                     // 000000008110: 7E5E0317
	v_pk_mul_f32 v[176:177], v[46:47], v[176:177]              // 000000008114: D3B140B0 1803612E
	v_pk_mul_f32 v[178:179], v[46:47], v[178:179]              // 00000000811C: D3B140B2 1803652E
	v_pk_mul_f32 v[180:181], v[46:47], v[180:181]              // 000000008124: D3B140B4 1803692E
	v_pk_mul_f32 v[182:183], v[46:47], v[182:183]              // 00000000812C: D3B140B6 18036D2E
	v_pk_mul_f32 v[184:185], v[46:47], v[184:185]              // 000000008134: D3B140B8 1803712E
	v_pk_mul_f32 v[186:187], v[46:47], v[186:187]              // 00000000813C: D3B140BA 1803752E
	v_pk_mul_f32 v[188:189], v[46:47], v[188:189]              // 000000008144: D3B140BC 1803792E
	v_pk_mul_f32 v[190:191], v[46:47], v[190:191]              // 00000000814C: D3B140BE 18037D2E
	v_cvt_pk_bf16_f32 v176, v176, v177                         // 000000008154: D26800B0 000363B0
	v_cvt_pk_bf16_f32 v177, v178, v179                         // 00000000815C: D26800B1 000367B2
	v_cvt_pk_bf16_f32 v178, v180, v181                         // 000000008164: D26800B2 00036BB4
	v_cvt_pk_bf16_f32 v179, v182, v183                         // 00000000816C: D26800B3 00036FB6
	v_cvt_pk_bf16_f32 v180, v184, v185                         // 000000008174: D26800B4 000373B8
	v_cvt_pk_bf16_f32 v181, v186, v187                         // 00000000817C: D26800B5 000377BA
	v_cvt_pk_bf16_f32 v182, v188, v189                         // 000000008184: D26800B6 00037BBC
	v_cvt_pk_bf16_f32 v183, v190, v191                         // 00000000818C: D26800B7 00037FBE
	s_cmp_ge_u32 s80, 0x200                                    // 000000008194: BF09FF50 00000200
	s_cselect_b32 s59, 0x200, s59                              // 00000000819C: 853B3BFF 00000200
	s_waitcnt lgkmcnt(0)                                       // 0000000081A4: BF8CC07F
	s_barrier                                                  // 0000000081A8: BF8A0000
	s_setvskip s20, 0                                          // 0000000081AC: BF108014
	global_atomic_pk_add_bf16 v80, v64, s[8:9]                 // 0000000081B0: DD488000 00084050
	s_setvskip 0, 0                                            // 0000000081B8: BF108080
	s_setvskip s20, 0                                          // 0000000081BC: BF108014
	global_atomic_pk_add_bf16 v80, v65, s[8:9] offset:256      // 0000000081C0: DD488100 00084150
	s_setvskip 0, 0                                            // 0000000081C8: BF108080
	s_setvskip s20, 1                                          // 0000000081CC: BF108114
	global_atomic_pk_add_bf16 v82, v66, s[8:9]                 // 0000000081D0: DD488000 00084252
	s_setvskip 0, 0                                            // 0000000081D8: BF108080
	s_setvskip s20, 1                                          // 0000000081DC: BF108114
	global_atomic_pk_add_bf16 v82, v67, s[8:9] offset:256      // 0000000081E0: DD488100 00084352
	s_setvskip 0, 0                                            // 0000000081E8: BF108080
	s_setvskip s20, 2                                          // 0000000081EC: BF108214
	global_atomic_pk_add_bf16 v84, v68, s[8:9]                 // 0000000081F0: DD488000 00084454
	s_setvskip 0, 0                                            // 0000000081F8: BF108080
	s_setvskip s20, 2                                          // 0000000081FC: BF108214
	global_atomic_pk_add_bf16 v84, v69, s[8:9] offset:256      // 000000008200: DD488100 00084554
	s_setvskip 0, 0                                            // 000000008208: BF108080
	s_setvskip s20, 3                                          // 00000000820C: BF108314
	global_atomic_pk_add_bf16 v86, v70, s[8:9]                 // 000000008210: DD488000 00084656
	s_setvskip 0, 0                                            // 000000008218: BF108080
	s_setvskip s20, 3                                          // 00000000821C: BF108314
	global_atomic_pk_add_bf16 v86, v71, s[8:9] offset:256      // 000000008220: DD488100 00084756
	s_setvskip 0, 0                                            // 000000008228: BF108080
	s_add_u32 s8, s59, s8                                      // 00000000822C: 8008083B
	s_addc_u32 s9, 0, s9                                       // 000000008230: 82090980
	s_addk_i32 s80, 0x100                                      // 000000008234: B7500100
	s_cmp_lt_i32 s80, s81                                      // 000000008238: BF045150
	s_cbranch_scc0 label_0CF5                                  // 00000000823C: BF84F7E5
	s_waitcnt vmcnt(29) lgkmcnt(0)                             // 000000008240: BF8C407D
	s_barrier                                                  // 000000008244: BF8A0000
	v_mfma_f32_16x16x128_f8f6f4 v[160:163], a[64:71], v[128:135], 0// 000000008248: D3AD00A0 0A030140
	buffer_load_dword v19, v6, s[16:19], 0 offen               // 000000008250: E0501000 80041306
	buffer_load_dwordx4 a[0:3], v37, s[12:15], 0 offen         // 000000008258: E05C1000 80830025
	buffer_load_dwordx4 a[4:7], v37, s[12:15], 0 offen offset:1024// 000000008260: E05C1400 80830425
	buffer_load_dwordx4 a[8:11], v38, s[12:15], 0 offen        // 000000008268: E05C1000 80830826
	buffer_load_dwordx4 a[12:15], v38, s[12:15], 0 offen offset:1024// 000000008270: E05C1400 80830C26
	v_mfma_f32_16x16x128_f8f6f4 v[164:167], a[72:79], v[128:135], 0// 000000008278: D3AD00A4 0A030148
	ds_read_b32 v64, v5 offset:11776                           // 000000008280: D86C2E00 40000005
	ds_read_b32 v65, v5 offset:16128                           // 000000008288: D86C3F00 41000005
	ds_read_b32 v66, v5 offset:11784                           // 000000008290: D86C2E08 42000005
	ds_read_b32 v67, v5 offset:16136                           // 000000008298: D86C3F08 43000005
	ds_read_b32 v68, v5 offset:11808                           // 0000000082A0: D86C2E20 44000005
	ds_read_b32 v69, v5 offset:16160                           // 0000000082A8: D86C3F20 45000005
	ds_read_b32 v70, v5 offset:11816                           // 0000000082B0: D86C2E28 46000005
	ds_read_b32 v71, v5 offset:16168                           // 0000000082B8: D86C3F28 47000005
	s_waitcnt vmcnt(29)                                        // 0000000082C0: BF8C4F7D
	v_mfma_f32_16x16x128_f8f6f4 v[168:171], a[80:87], v[128:135], 0// 0000000082C4: D3AD00A8 0A030150
	buffer_load_dwordx4 a[16:19], v39, s[12:15], 0 offen       // 0000000082CC: E05C1000 80831027
	buffer_load_dwordx4 a[20:23], v39, s[12:15], 0 offen offset:1024// 0000000082D4: E05C1400 80831427
	buffer_load_dwordx4 a[24:27], v40, s[12:15], 0 offen       // 0000000082DC: E05C1000 80831828
	buffer_load_dwordx4 a[28:31], v40, s[12:15], 0 offen offset:1024// 0000000082E4: E05C1400 80831C28
	s_add_u32 s12, s78, s12                                    // 0000000082EC: 800C0C4E
	s_addc_u32 s13, 0, s13                                     // 0000000082F0: 820D0D80
	v_mfma_f32_16x16x128_f8f6f4 v[172:175], a[88:95], v[128:135], 0// 0000000082F4: D3AD00AC 0A030158
	v_mul_f32_dpp v46, v20, v28 row_newbcast:0 row_mask:0xf bank_mask:0xf// 0000000082FC: 0A5C38FA FF015014
	v_mov_b32_e32 v47, v46                                     // 000000008304: 7E5E032E
	v_pk_mul_f32 v[160:161], v[46:47], v[160:161]              // 000000008308: D3B140A0 1803412E
	v_pk_mul_f32 v[162:163], v[46:47], v[162:163]              // 000000008310: D3B140A2 1803452E
	v_pk_mul_f32 v[164:165], v[46:47], v[164:165]              // 000000008318: D3B140A4 1803492E
	v_pk_mul_f32 v[166:167], v[46:47], v[166:167]              // 000000008320: D3B140A6 18034D2E
	v_mul_f32_dpp v46, v20, v28 row_newbcast:1 row_mask:0xf bank_mask:0xf// 000000008328: 0A5C38FA FF015114
	v_mov_b32_e32 v47, v46                                     // 000000008330: 7E5E032E
	v_pk_mul_f32 v[168:169], v[46:47], v[168:169]              // 000000008334: D3B140A8 1803512E
	v_pk_mul_f32 v[170:171], v[46:47], v[170:171]              // 00000000833C: D3B140AA 1803552E
	v_pk_mul_f32 v[172:173], v[46:47], v[172:173]              // 000000008344: D3B140AC 1803592E
	v_pk_mul_f32 v[174:175], v[46:47], v[174:175]              // 00000000834C: D3B140AE 18035D2E
	s_waitcnt vmcnt(29)                                        // 000000008354: BF8C4F7D
	v_mfma_f32_16x16x128_f8f6f4 v[144:147], a[96:103], v[136:143], 0// 000000008358: D3AD0090 0A031160
	buffer_load_dwordx4 a[32:35], v37, s[12:15], 0 offen       // 000000008360: E05C1000 80832025
	buffer_load_dwordx4 a[36:39], v37, s[12:15], 0 offen offset:1024// 000000008368: E05C1400 80832425
	buffer_load_dwordx4 a[40:43], v38, s[12:15], 0 offen       // 000000008370: E05C1000 80832826
	buffer_load_dwordx4 a[44:47], v38, s[12:15], 0 offen offset:1024// 000000008378: E05C1400 80832C26
	v_mfma_f32_16x16x128_f8f6f4 v[148:151], a[104:111], v[136:143], 0// 000000008380: D3AD0094 0A031168
	ds_write_b64 v4, v[176:177] offset:29184                   // 000000008388: D89A7200 0000B004
	ds_write_b64 v4, v[178:179] offset:31360                   // 000000008390: D89A7A80 0000B204
	ds_write_b64 v4, v[180:181] offset:33536                   // 000000008398: D89A8300 0000B404
	ds_write_b64 v4, v[182:183] offset:35712                   // 0000000083A0: D89A8B80 0000B604
	s_waitcnt vmcnt(29)                                        // 0000000083A8: BF8C4F7D
	v_mfma_f32_16x16x128_f8f6f4 v[152:155], a[112:119], v[136:143], 0// 0000000083AC: D3AD0098 0A031170
	buffer_load_dwordx4 a[48:51], v39, s[12:15], 0 offen       // 0000000083B4: E05C1000 80833027
	buffer_load_dwordx4 a[52:55], v39, s[12:15], 0 offen offset:1024// 0000000083BC: E05C1400 80833427
	buffer_load_dwordx4 a[56:59], v40, s[12:15], 0 offen       // 0000000083C4: E05C1000 80833828
	buffer_load_dwordx4 a[60:63], v40, s[12:15], 0 offen offset:1024// 0000000083CC: E05C1400 80833C28
	v_mfma_f32_16x16x128_f8f6f4 v[156:159], a[120:127], v[136:143], 0// 0000000083D4: D3AD009C 0A031178
	v_mul_f32_dpp v46, v20, v29 row_newbcast:2 row_mask:0xf bank_mask:0xf// 0000000083DC: 0A5C3AFA FF015214
	v_mov_b32_e32 v47, v46                                     // 0000000083E4: 7E5E032E
	v_pk_fma_f32 v[160:161], v[144:145], v[46:47], v[160:161]  // 0000000083E8: D3B040A0 1E825D90
	v_pk_fma_f32 v[162:163], v[146:147], v[46:47], v[162:163]  // 0000000083F0: D3B040A2 1E8A5D92
	v_pk_fma_f32 v[164:165], v[148:149], v[46:47], v[164:165]  // 0000000083F8: D3B040A4 1E925D94
	v_pk_fma_f32 v[166:167], v[150:151], v[46:47], v[166:167]  // 000000008400: D3B040A6 1E9A5D96
	v_mul_f32_dpp v46, v20, v29 row_newbcast:3 row_mask:0xf bank_mask:0xf// 000000008408: 0A5C3AFA FF015314
	v_mov_b32_e32 v47, v46                                     // 000000008410: 7E5E032E
	v_pk_fma_f32 v[168:169], v[152:153], v[46:47], v[168:169]  // 000000008414: D3B040A8 1EA25D98
	v_pk_fma_f32 v[170:171], v[154:155], v[46:47], v[170:171]  // 00000000841C: D3B040AA 1EAA5D9A
	v_pk_fma_f32 v[172:173], v[156:157], v[46:47], v[172:173]  // 000000008424: D3B040AC 1EB25D9C
	v_pk_fma_f32 v[174:175], v[158:159], v[46:47], v[174:175]  // 00000000842C: D3B040AE 1EBA5D9E
	s_add_u32 s60, 0x300, s80                                  // 000000008434: 803C50FF 00000300
	s_cmp_lt_u32 s60, s81                                      // 00000000843C: BF0A513C
	s_cselect_b32 s56, s56, 0                                  // 000000008440: 85388038
	s_cselect_b32 s78, s78, 0                                  // 000000008444: 854E804E
	s_cselect_b32 s79, s79, 0                                  // 000000008448: 854F804F
	s_add_u32 s12, s56, s12                                    // 00000000844C: 800C0C38
	s_addc_u32 s13, 0, s13                                     // 000000008450: 820D0D80
	s_add_u32 s16, s79, s16                                    // 000000008454: 8010104F
	s_addc_u32 s17, 0, s17                                     // 000000008458: 82111180
	v_mov_b32_e32 v46, v23                                     // 00000000845C: 7E5C0317
	v_mov_b32_e32 v47, v23                                     // 000000008460: 7E5E0317
	v_pk_mul_f32 v[160:161], v[46:47], v[160:161]              // 000000008464: D3B140A0 1803412E
	v_pk_mul_f32 v[162:163], v[46:47], v[162:163]              // 00000000846C: D3B140A2 1803452E
	v_pk_mul_f32 v[164:165], v[46:47], v[164:165]              // 000000008474: D3B140A4 1803492E
	v_pk_mul_f32 v[166:167], v[46:47], v[166:167]              // 00000000847C: D3B140A6 18034D2E
	v_pk_mul_f32 v[168:169], v[46:47], v[168:169]              // 000000008484: D3B140A8 1803512E
	v_pk_mul_f32 v[170:171], v[46:47], v[170:171]              // 00000000848C: D3B140AA 1803552E
	v_pk_mul_f32 v[172:173], v[46:47], v[172:173]              // 000000008494: D3B140AC 1803592E
	v_pk_mul_f32 v[174:175], v[46:47], v[174:175]              // 00000000849C: D3B140AE 18035D2E
	v_cvt_pk_bf16_f32 v160, v160, v161                         // 0000000084A4: D26800A0 000343A0
	v_cvt_pk_bf16_f32 v161, v162, v163                         // 0000000084AC: D26800A1 000347A2
	v_cvt_pk_bf16_f32 v162, v164, v165                         // 0000000084B4: D26800A2 00034BA4
	v_cvt_pk_bf16_f32 v163, v166, v167                         // 0000000084BC: D26800A3 00034FA6
	v_cvt_pk_bf16_f32 v164, v168, v169                         // 0000000084C4: D26800A4 000353A8
	v_cvt_pk_bf16_f32 v165, v170, v171                         // 0000000084CC: D26800A5 000357AA
	v_cvt_pk_bf16_f32 v166, v172, v173                         // 0000000084D4: D26800A6 00035BAC
	v_cvt_pk_bf16_f32 v167, v174, v175                         // 0000000084DC: D26800A7 00035FAE
	s_cmp_ge_u32 s80, 0x200                                    // 0000000084E4: BF09FF50 00000200
	s_cselect_b32 s59, 0x200, s59                              // 0000000084EC: 853B3BFF 00000200
	s_waitcnt lgkmcnt(0)                                       // 0000000084F4: BF8CC07F
	s_barrier                                                  // 0000000084F8: BF8A0000
	s_setvskip s20, 0                                          // 0000000084FC: BF108014
	global_atomic_pk_add_bf16 v80, v64, s[8:9]                 // 000000008500: DD488000 00084050
	s_setvskip 0, 0                                            // 000000008508: BF108080
	s_setvskip s20, 0                                          // 00000000850C: BF108014
	global_atomic_pk_add_bf16 v80, v65, s[8:9] offset:256      // 000000008510: DD488100 00084150
	s_setvskip 0, 0                                            // 000000008518: BF108080
	s_setvskip s20, 1                                          // 00000000851C: BF108114
	global_atomic_pk_add_bf16 v82, v66, s[8:9]                 // 000000008520: DD488000 00084252
	s_setvskip 0, 0                                            // 000000008528: BF108080
	s_setvskip s20, 1                                          // 00000000852C: BF108114
	global_atomic_pk_add_bf16 v82, v67, s[8:9] offset:256      // 000000008530: DD488100 00084352
	s_setvskip 0, 0                                            // 000000008538: BF108080
	s_setvskip s20, 2                                          // 00000000853C: BF108214
	global_atomic_pk_add_bf16 v84, v68, s[8:9]                 // 000000008540: DD488000 00084454
	s_setvskip 0, 0                                            // 000000008548: BF108080
	s_setvskip s20, 2                                          // 00000000854C: BF108214
	global_atomic_pk_add_bf16 v84, v69, s[8:9] offset:256      // 000000008550: DD488100 00084554
	s_setvskip 0, 0                                            // 000000008558: BF108080
	s_setvskip s20, 3                                          // 00000000855C: BF108314
	global_atomic_pk_add_bf16 v86, v70, s[8:9]                 // 000000008560: DD488000 00084656
	s_setvskip 0, 0                                            // 000000008568: BF108080
	s_setvskip s20, 3                                          // 00000000856C: BF108314
	global_atomic_pk_add_bf16 v86, v71, s[8:9] offset:256      // 000000008570: DD488100 00084756
	s_setvskip 0, 0                                            // 000000008578: BF108080
	s_add_u32 s8, s59, s8                                      // 00000000857C: 8008083B
	s_addc_u32 s9, 0, s9                                       // 000000008580: 82090980
	s_addk_i32 s80, 0x100                                      // 000000008584: B7500100
	s_cmp_lt_i32 s80, s81                                      // 000000008588: BF045150
	s_cbranch_scc0 label_0CF5                                  // 00000000858C: BF84F711
	s_waitcnt vmcnt(29) lgkmcnt(0)                             // 000000008590: BF8C407D
	s_barrier                                                  // 000000008594: BF8A0000
	v_mfma_f32_16x16x128_f8f6f4 v[176:179], a[128:135], v[128:135], 0// 000000008598: D3AD00B0 0A030180
	buffer_load_dword v20, v6, s[16:19], 0 offen               // 0000000085A0: E0501000 80041406
	buffer_load_dwordx4 a[64:67], v37, s[12:15], 0 offen       // 0000000085A8: E05C1000 80834025
	buffer_load_dwordx4 a[68:71], v37, s[12:15], 0 offen offset:1024// 0000000085B0: E05C1400 80834425
	buffer_load_dwordx4 a[72:75], v38, s[12:15], 0 offen       // 0000000085B8: E05C1000 80834826
	buffer_load_dwordx4 a[76:79], v38, s[12:15], 0 offen offset:1024// 0000000085C0: E05C1400 80834C26
	v_mfma_f32_16x16x128_f8f6f4 v[180:183], a[136:143], v[128:135], 0// 0000000085C8: D3AD00B4 0A030188
	ds_read_b32 v64, v5 offset:29184                           // 0000000085D0: D86C7200 40000005
	ds_read_b32 v65, v5 offset:33536                           // 0000000085D8: D86C8300 41000005
	ds_read_b32 v66, v5 offset:29192                           // 0000000085E0: D86C7208 42000005
	ds_read_b32 v67, v5 offset:33544                           // 0000000085E8: D86C8308 43000005
	ds_read_b32 v68, v5 offset:29216                           // 0000000085F0: D86C7220 44000005
	ds_read_b32 v69, v5 offset:33568                           // 0000000085F8: D86C8320 45000005
	ds_read_b32 v70, v5 offset:29224                           // 000000008600: D86C7228 46000005
	ds_read_b32 v71, v5 offset:33576                           // 000000008608: D86C8328 47000005
	s_waitcnt vmcnt(29)                                        // 000000008610: BF8C4F7D
	v_mfma_f32_16x16x128_f8f6f4 v[184:187], a[144:151], v[128:135], 0// 000000008614: D3AD00B8 0A030190
	buffer_load_dwordx4 a[80:83], v39, s[12:15], 0 offen       // 00000000861C: E05C1000 80835027
	buffer_load_dwordx4 a[84:87], v39, s[12:15], 0 offen offset:1024// 000000008624: E05C1400 80835427
	buffer_load_dwordx4 a[88:91], v40, s[12:15], 0 offen       // 00000000862C: E05C1000 80835828
	buffer_load_dwordx4 a[92:95], v40, s[12:15], 0 offen offset:1024// 000000008634: E05C1400 80835C28
	s_add_u32 s12, s78, s12                                    // 00000000863C: 800C0C4E
	s_addc_u32 s13, 0, s13                                     // 000000008640: 820D0D80
	v_mfma_f32_16x16x128_f8f6f4 v[188:191], a[152:159], v[128:135], 0// 000000008644: D3AD00BC 0A030198
	v_mul_f32_dpp v46, v21, v28 row_newbcast:0 row_mask:0xf bank_mask:0xf// 00000000864C: 0A5C38FA FF015015
	v_mov_b32_e32 v47, v46                                     // 000000008654: 7E5E032E
	v_pk_mul_f32 v[176:177], v[46:47], v[176:177]              // 000000008658: D3B140B0 1803612E
	v_pk_mul_f32 v[178:179], v[46:47], v[178:179]              // 000000008660: D3B140B2 1803652E
	v_pk_mul_f32 v[180:181], v[46:47], v[180:181]              // 000000008668: D3B140B4 1803692E
	v_pk_mul_f32 v[182:183], v[46:47], v[182:183]              // 000000008670: D3B140B6 18036D2E
	v_mul_f32_dpp v46, v21, v28 row_newbcast:1 row_mask:0xf bank_mask:0xf// 000000008678: 0A5C38FA FF015115
	v_mov_b32_e32 v47, v46                                     // 000000008680: 7E5E032E
	v_pk_mul_f32 v[184:185], v[46:47], v[184:185]              // 000000008684: D3B140B8 1803712E
	v_pk_mul_f32 v[186:187], v[46:47], v[186:187]              // 00000000868C: D3B140BA 1803752E
	v_pk_mul_f32 v[188:189], v[46:47], v[188:189]              // 000000008694: D3B140BC 1803792E
	v_pk_mul_f32 v[190:191], v[46:47], v[190:191]              // 00000000869C: D3B140BE 18037D2E
	s_waitcnt vmcnt(29)                                        // 0000000086A4: BF8C4F7D
	v_mfma_f32_16x16x128_f8f6f4 v[144:147], a[160:167], v[136:143], 0// 0000000086A8: D3AD0090 0A0311A0
	buffer_load_dwordx4 a[96:99], v37, s[12:15], 0 offen       // 0000000086B0: E05C1000 80836025
	buffer_load_dwordx4 a[100:103], v37, s[12:15], 0 offen offset:1024// 0000000086B8: E05C1400 80836425
	buffer_load_dwordx4 a[104:107], v38, s[12:15], 0 offen     // 0000000086C0: E05C1000 80836826
	buffer_load_dwordx4 a[108:111], v38, s[12:15], 0 offen offset:1024// 0000000086C8: E05C1400 80836C26
	v_mfma_f32_16x16x128_f8f6f4 v[148:151], a[168:175], v[136:143], 0// 0000000086D0: D3AD0094 0A0311A8
	ds_write_b64 v4, v[160:161] offset:11776                   // 0000000086D8: D89A2E00 0000A004
	ds_write_b64 v4, v[162:163] offset:13952                   // 0000000086E0: D89A3680 0000A204
	ds_write_b64 v4, v[164:165] offset:16128                   // 0000000086E8: D89A3F00 0000A404
	ds_write_b64 v4, v[166:167] offset:18304                   // 0000000086F0: D89A4780 0000A604
	s_waitcnt vmcnt(29)                                        // 0000000086F8: BF8C4F7D
	v_mfma_f32_16x16x128_f8f6f4 v[152:155], a[176:183], v[136:143], 0// 0000000086FC: D3AD0098 0A0311B0
	buffer_load_dwordx4 a[112:115], v39, s[12:15], 0 offen     // 000000008704: E05C1000 80837027
	buffer_load_dwordx4 a[116:119], v39, s[12:15], 0 offen offset:1024// 00000000870C: E05C1400 80837427
	buffer_load_dwordx4 a[120:123], v40, s[12:15], 0 offen     // 000000008714: E05C1000 80837828
	buffer_load_dwordx4 a[124:127], v40, s[12:15], 0 offen offset:1024// 00000000871C: E05C1400 80837C28
	v_mfma_f32_16x16x128_f8f6f4 v[156:159], a[184:191], v[136:143], 0// 000000008724: D3AD009C 0A0311B8
	v_mul_f32_dpp v46, v21, v29 row_newbcast:2 row_mask:0xf bank_mask:0xf// 00000000872C: 0A5C3AFA FF015215
	v_mov_b32_e32 v47, v46                                     // 000000008734: 7E5E032E
	v_pk_fma_f32 v[176:177], v[144:145], v[46:47], v[176:177]  // 000000008738: D3B040B0 1EC25D90
	v_pk_fma_f32 v[178:179], v[146:147], v[46:47], v[178:179]  // 000000008740: D3B040B2 1ECA5D92
	v_pk_fma_f32 v[180:181], v[148:149], v[46:47], v[180:181]  // 000000008748: D3B040B4 1ED25D94
	v_pk_fma_f32 v[182:183], v[150:151], v[46:47], v[182:183]  // 000000008750: D3B040B6 1EDA5D96
	v_mul_f32_dpp v46, v21, v29 row_newbcast:3 row_mask:0xf bank_mask:0xf// 000000008758: 0A5C3AFA FF015315
	v_mov_b32_e32 v47, v46                                     // 000000008760: 7E5E032E
	v_pk_fma_f32 v[184:185], v[152:153], v[46:47], v[184:185]  // 000000008764: D3B040B8 1EE25D98
	v_pk_fma_f32 v[186:187], v[154:155], v[46:47], v[186:187]  // 00000000876C: D3B040BA 1EEA5D9A
	v_pk_fma_f32 v[188:189], v[156:157], v[46:47], v[188:189]  // 000000008774: D3B040BC 1EF25D9C
	v_pk_fma_f32 v[190:191], v[158:159], v[46:47], v[190:191]  // 00000000877C: D3B040BE 1EFA5D9E
	s_add_u32 s60, 0x300, s80                                  // 000000008784: 803C50FF 00000300
	s_cmp_lt_u32 s60, s81                                      // 00000000878C: BF0A513C
	s_cselect_b32 s56, s56, 0                                  // 000000008790: 85388038
	s_cselect_b32 s78, s78, 0                                  // 000000008794: 854E804E
	s_cselect_b32 s79, s79, 0                                  // 000000008798: 854F804F
	s_add_u32 s12, s56, s12                                    // 00000000879C: 800C0C38
	s_addc_u32 s13, 0, s13                                     // 0000000087A0: 820D0D80
	s_add_u32 s16, s79, s16                                    // 0000000087A4: 8010104F
	s_addc_u32 s17, 0, s17                                     // 0000000087A8: 82111180
	v_mov_b32_e32 v46, v23                                     // 0000000087AC: 7E5C0317
	v_mov_b32_e32 v47, v23                                     // 0000000087B0: 7E5E0317
	v_pk_mul_f32 v[176:177], v[46:47], v[176:177]              // 0000000087B4: D3B140B0 1803612E
	v_pk_mul_f32 v[178:179], v[46:47], v[178:179]              // 0000000087BC: D3B140B2 1803652E
	v_pk_mul_f32 v[180:181], v[46:47], v[180:181]              // 0000000087C4: D3B140B4 1803692E
	v_pk_mul_f32 v[182:183], v[46:47], v[182:183]              // 0000000087CC: D3B140B6 18036D2E
	v_pk_mul_f32 v[184:185], v[46:47], v[184:185]              // 0000000087D4: D3B140B8 1803712E
	v_pk_mul_f32 v[186:187], v[46:47], v[186:187]              // 0000000087DC: D3B140BA 1803752E
	v_pk_mul_f32 v[188:189], v[46:47], v[188:189]              // 0000000087E4: D3B140BC 1803792E
	v_pk_mul_f32 v[190:191], v[46:47], v[190:191]              // 0000000087EC: D3B140BE 18037D2E
	v_cvt_pk_bf16_f32 v176, v176, v177                         // 0000000087F4: D26800B0 000363B0
	v_cvt_pk_bf16_f32 v177, v178, v179                         // 0000000087FC: D26800B1 000367B2
	v_cvt_pk_bf16_f32 v178, v180, v181                         // 000000008804: D26800B2 00036BB4
	v_cvt_pk_bf16_f32 v179, v182, v183                         // 00000000880C: D26800B3 00036FB6
	v_cvt_pk_bf16_f32 v180, v184, v185                         // 000000008814: D26800B4 000373B8
	v_cvt_pk_bf16_f32 v181, v186, v187                         // 00000000881C: D26800B5 000377BA
	v_cvt_pk_bf16_f32 v182, v188, v189                         // 000000008824: D26800B6 00037BBC
	v_cvt_pk_bf16_f32 v183, v190, v191                         // 00000000882C: D26800B7 00037FBE
	s_cmp_ge_u32 s80, 0x200                                    // 000000008834: BF09FF50 00000200
	s_cselect_b32 s59, 0x200, s59                              // 00000000883C: 853B3BFF 00000200
	s_waitcnt lgkmcnt(0)                                       // 000000008844: BF8CC07F
	s_barrier                                                  // 000000008848: BF8A0000
	s_setvskip s20, 0                                          // 00000000884C: BF108014
	global_atomic_pk_add_bf16 v80, v64, s[8:9]                 // 000000008850: DD488000 00084050
	s_setvskip 0, 0                                            // 000000008858: BF108080
	s_setvskip s20, 0                                          // 00000000885C: BF108014
	global_atomic_pk_add_bf16 v80, v65, s[8:9] offset:256      // 000000008860: DD488100 00084150
	s_setvskip 0, 0                                            // 000000008868: BF108080
	s_setvskip s20, 1                                          // 00000000886C: BF108114
	global_atomic_pk_add_bf16 v82, v66, s[8:9]                 // 000000008870: DD488000 00084252
	s_setvskip 0, 0                                            // 000000008878: BF108080
	s_setvskip s20, 1                                          // 00000000887C: BF108114
	global_atomic_pk_add_bf16 v82, v67, s[8:9] offset:256      // 000000008880: DD488100 00084352
	s_setvskip 0, 0                                            // 000000008888: BF108080
	s_setvskip s20, 2                                          // 00000000888C: BF108214
	global_atomic_pk_add_bf16 v84, v68, s[8:9]                 // 000000008890: DD488000 00084454
	s_setvskip 0, 0                                            // 000000008898: BF108080
	s_setvskip s20, 2                                          // 00000000889C: BF108214
	global_atomic_pk_add_bf16 v84, v69, s[8:9] offset:256      // 0000000088A0: DD488100 00084554
	s_setvskip 0, 0                                            // 0000000088A8: BF108080
	s_setvskip s20, 3                                          // 0000000088AC: BF108314
	global_atomic_pk_add_bf16 v86, v70, s[8:9]                 // 0000000088B0: DD488000 00084656
	s_setvskip 0, 0                                            // 0000000088B8: BF108080
	s_setvskip s20, 3                                          // 0000000088BC: BF108314
	global_atomic_pk_add_bf16 v86, v71, s[8:9] offset:256      // 0000000088C0: DD488100 00084756
	s_setvskip 0, 0                                            // 0000000088C8: BF108080
	s_add_u32 s8, s59, s8                                      // 0000000088CC: 8008083B
	s_addc_u32 s9, 0, s9                                       // 0000000088D0: 82090980
	s_addk_i32 s80, 0x100                                      // 0000000088D4: B7500100
	s_cmp_lt_i32 s80, s81                                      // 0000000088D8: BF045150
	s_cbranch_scc0 label_0CF5                                  // 0000000088DC: BF84F63D
	s_branch label_11C0                                        // 0000000088E0: BF82FB07

00000000000088e4 <label_16B9>:
	s_cmp_ge_u32 s59, 0                                        // 0000000088E4: BF09803B
	s_cselect_b32 s59, 0x200, s59                              // 0000000088E8: 853B3BFF 00000200
	s_waitcnt lgkmcnt(0)                                       // 0000000088F0: BF8CC07F
	s_barrier                                                  // 0000000088F4: BF8A0000
	s_cmp_eq_u32 s64, 0x100                                    // 0000000088F8: BF06FF40 00000100
	s_cbranch_scc0 label_16FD                                  // 000000008900: BF84003C
	ds_write_b64 v4, v[160:161] offset:11776                   // 000000008904: D89A2E00 0000A004
	ds_write_b64 v4, v[162:163] offset:13952                   // 00000000890C: D89A3680 0000A204
	ds_write_b64 v4, v[164:165] offset:16128                   // 000000008914: D89A3F00 0000A404
	ds_write_b64 v4, v[166:167] offset:18304                   // 00000000891C: D89A4780 0000A604
	s_waitcnt lgkmcnt(0)                                       // 000000008924: BF8CC07F
	s_barrier                                                  // 000000008928: BF8A0000
	ds_read_b32 v64, v5 offset:11776                           // 00000000892C: D86C2E00 40000005
	ds_read_b32 v65, v5 offset:16128                           // 000000008934: D86C3F00 41000005
	ds_read_b32 v66, v5 offset:11784                           // 00000000893C: D86C2E08 42000005
	ds_read_b32 v67, v5 offset:16136                           // 000000008944: D86C3F08 43000005
	ds_read_b32 v68, v5 offset:11808                           // 00000000894C: D86C2E20 44000005
	ds_read_b32 v69, v5 offset:16160                           // 000000008954: D86C3F20 45000005
	ds_read_b32 v70, v5 offset:11816                           // 00000000895C: D86C2E28 46000005
	ds_read_b32 v71, v5 offset:16168                           // 000000008964: D86C3F28 47000005
	s_waitcnt lgkmcnt(0)                                       // 00000000896C: BF8CC07F
	s_setvskip s20, 0                                          // 000000008970: BF108014
	global_atomic_pk_add_bf16 v80, v64, s[8:9]                 // 000000008974: DD488000 00084050
	s_setvskip 0, 0                                            // 00000000897C: BF108080
	s_setvskip s20, 0                                          // 000000008980: BF108014
	global_atomic_pk_add_bf16 v80, v65, s[8:9] offset:256      // 000000008984: DD488100 00084150
	s_setvskip 0, 0                                            // 00000000898C: BF108080
	s_setvskip s20, 1                                          // 000000008990: BF108114
	global_atomic_pk_add_bf16 v82, v66, s[8:9]                 // 000000008994: DD488000 00084252
	s_setvskip 0, 0                                            // 00000000899C: BF108080
	s_setvskip s20, 1                                          // 0000000089A0: BF108114
	global_atomic_pk_add_bf16 v82, v67, s[8:9] offset:256      // 0000000089A4: DD488100 00084352
	s_setvskip 0, 0                                            // 0000000089AC: BF108080
	s_setvskip s20, 2                                          // 0000000089B0: BF108214
	global_atomic_pk_add_bf16 v84, v68, s[8:9]                 // 0000000089B4: DD488000 00084454
	s_setvskip 0, 0                                            // 0000000089BC: BF108080
	s_setvskip s20, 2                                          // 0000000089C0: BF108214
	global_atomic_pk_add_bf16 v84, v69, s[8:9] offset:256      // 0000000089C4: DD488100 00084554
	s_setvskip 0, 0                                            // 0000000089CC: BF108080
	s_setvskip s20, 3                                          // 0000000089D0: BF108314
	global_atomic_pk_add_bf16 v86, v70, s[8:9]                 // 0000000089D4: DD488000 00084656
	s_setvskip 0, 0                                            // 0000000089DC: BF108080
	s_setvskip s20, 3                                          // 0000000089E0: BF108314
	global_atomic_pk_add_bf16 v86, v71, s[8:9] offset:256      // 0000000089E4: DD488100 00084756
	s_setvskip 0, 0                                            // 0000000089EC: BF108080
	s_branch label_176B                                        // 0000000089F0: BF82006E

00000000000089f4 <label_16FD>:
	ds_read_b32 v64, v5 offset:11776                           // 0000000089F4: D86C2E00 40000005
	ds_read_b32 v65, v5 offset:16128                           // 0000000089FC: D86C3F00 41000005
	ds_read_b32 v66, v5 offset:11784                           // 000000008A04: D86C2E08 42000005
	ds_read_b32 v67, v5 offset:16136                           // 000000008A0C: D86C3F08 43000005
	ds_read_b32 v68, v5 offset:11808                           // 000000008A14: D86C2E20 44000005
	ds_read_b32 v69, v5 offset:16160                           // 000000008A1C: D86C3F20 45000005
	ds_read_b32 v70, v5 offset:11816                           // 000000008A24: D86C2E28 46000005
	ds_read_b32 v71, v5 offset:16168                           // 000000008A2C: D86C3F28 47000005
	s_waitcnt lgkmcnt(0)                                       // 000000008A34: BF8CC07F
	s_setvskip s20, 0                                          // 000000008A38: BF108014
	global_atomic_pk_add_bf16 v80, v64, s[8:9]                 // 000000008A3C: DD488000 00084050
	s_setvskip 0, 0                                            // 000000008A44: BF108080
	s_setvskip s20, 0                                          // 000000008A48: BF108014
	global_atomic_pk_add_bf16 v80, v65, s[8:9] offset:256      // 000000008A4C: DD488100 00084150
	s_setvskip 0, 0                                            // 000000008A54: BF108080
	s_setvskip s20, 1                                          // 000000008A58: BF108114
	global_atomic_pk_add_bf16 v82, v66, s[8:9]                 // 000000008A5C: DD488000 00084252
	s_setvskip 0, 0                                            // 000000008A64: BF108080
	s_setvskip s20, 1                                          // 000000008A68: BF108114
	global_atomic_pk_add_bf16 v82, v67, s[8:9] offset:256      // 000000008A6C: DD488100 00084352
	s_setvskip 0, 0                                            // 000000008A74: BF108080
	s_setvskip s20, 2                                          // 000000008A78: BF108214
	global_atomic_pk_add_bf16 v84, v68, s[8:9]                 // 000000008A7C: DD488000 00084454
	s_setvskip 0, 0                                            // 000000008A84: BF108080
	s_setvskip s20, 2                                          // 000000008A88: BF108214
	global_atomic_pk_add_bf16 v84, v69, s[8:9] offset:256      // 000000008A8C: DD488100 00084554
	s_setvskip 0, 0                                            // 000000008A94: BF108080
	s_setvskip s20, 3                                          // 000000008A98: BF108314
	global_atomic_pk_add_bf16 v86, v70, s[8:9]                 // 000000008A9C: DD488000 00084656
	s_setvskip 0, 0                                            // 000000008AA4: BF108080
	s_setvskip s20, 3                                          // 000000008AA8: BF108314
	global_atomic_pk_add_bf16 v86, v71, s[8:9] offset:256      // 000000008AAC: DD488100 00084756
	s_setvskip 0, 0                                            // 000000008AB4: BF108080
	s_add_u32 s8, s59, s8                                      // 000000008AB8: 8008083B
	s_addc_u32 s9, 0, s9                                       // 000000008ABC: 82090980
	ds_write_b64 v4, v[176:177] offset:29184                   // 000000008AC0: D89A7200 0000B004
	ds_write_b64 v4, v[178:179] offset:31360                   // 000000008AC8: D89A7A80 0000B204
	ds_write_b64 v4, v[180:181] offset:33536                   // 000000008AD0: D89A8300 0000B404
	ds_write_b64 v4, v[182:183] offset:35712                   // 000000008AD8: D89A8B80 0000B604
	s_waitcnt lgkmcnt(0)                                       // 000000008AE0: BF8CC07F
	s_barrier                                                  // 000000008AE4: BF8A0000
	ds_read_b32 v64, v5 offset:29184                           // 000000008AE8: D86C7200 40000005
	ds_read_b32 v65, v5 offset:33536                           // 000000008AF0: D86C8300 41000005
	ds_read_b32 v66, v5 offset:29192                           // 000000008AF8: D86C7208 42000005
	ds_read_b32 v67, v5 offset:33544                           // 000000008B00: D86C8308 43000005
	ds_read_b32 v68, v5 offset:29216                           // 000000008B08: D86C7220 44000005
	ds_read_b32 v69, v5 offset:33568                           // 000000008B10: D86C8320 45000005
	ds_read_b32 v70, v5 offset:29224                           // 000000008B18: D86C7228 46000005
	ds_read_b32 v71, v5 offset:33576                           // 000000008B20: D86C8328 47000005
	s_waitcnt lgkmcnt(0)                                       // 000000008B28: BF8CC07F
	s_setvskip s20, 0                                          // 000000008B2C: BF108014
	global_atomic_pk_add_bf16 v80, v64, s[8:9]                 // 000000008B30: DD488000 00084050
	s_setvskip 0, 0                                            // 000000008B38: BF108080
	s_setvskip s20, 0                                          // 000000008B3C: BF108014
	global_atomic_pk_add_bf16 v80, v65, s[8:9] offset:256      // 000000008B40: DD488100 00084150
	s_setvskip 0, 0                                            // 000000008B48: BF108080
	s_setvskip s20, 1                                          // 000000008B4C: BF108114
	global_atomic_pk_add_bf16 v82, v66, s[8:9]                 // 000000008B50: DD488000 00084252
	s_setvskip 0, 0                                            // 000000008B58: BF108080
	s_setvskip s20, 1                                          // 000000008B5C: BF108114
	global_atomic_pk_add_bf16 v82, v67, s[8:9] offset:256      // 000000008B60: DD488100 00084352
	s_setvskip 0, 0                                            // 000000008B68: BF108080
	s_setvskip s20, 2                                          // 000000008B6C: BF108214
	global_atomic_pk_add_bf16 v84, v68, s[8:9]                 // 000000008B70: DD488000 00084454
	s_setvskip 0, 0                                            // 000000008B78: BF108080
	s_setvskip s20, 2                                          // 000000008B7C: BF108214
	global_atomic_pk_add_bf16 v84, v69, s[8:9] offset:256      // 000000008B80: DD488100 00084554
	s_setvskip 0, 0                                            // 000000008B88: BF108080
	s_setvskip s20, 3                                          // 000000008B8C: BF108314
	global_atomic_pk_add_bf16 v86, v70, s[8:9]                 // 000000008B90: DD488000 00084656
	s_setvskip 0, 0                                            // 000000008B98: BF108080
	s_setvskip s20, 3                                          // 000000008B9C: BF108314
	global_atomic_pk_add_bf16 v86, v71, s[8:9] offset:256      // 000000008BA0: DD488100 00084756
	s_setvskip 0, 0                                            // 000000008BA8: BF108080

0000000000008bac <label_176B>:
	s_waitcnt vmcnt(0) expcnt(0) lgkmcnt(0)                    // 000000008BAC: BF8C0000
	s_endpgm                                                   // 000000008BB0: BF810000
